;; amdgpu-corpus repo=ROCm/rocFFT kind=compiled arch=gfx1030 opt=O3
	.text
	.amdgcn_target "amdgcn-amd-amdhsa--gfx1030"
	.amdhsa_code_object_version 6
	.protected	bluestein_single_fwd_len260_dim1_half_op_CI_CI ; -- Begin function bluestein_single_fwd_len260_dim1_half_op_CI_CI
	.globl	bluestein_single_fwd_len260_dim1_half_op_CI_CI
	.p2align	8
	.type	bluestein_single_fwd_len260_dim1_half_op_CI_CI,@function
bluestein_single_fwd_len260_dim1_half_op_CI_CI: ; @bluestein_single_fwd_len260_dim1_half_op_CI_CI
; %bb.0:
	s_load_dwordx4 s[0:3], s[4:5], 0x28
	v_mul_u32_u24_e32 v1, 0x9d9, v0
	v_mov_b32_e32 v9, 0
	v_lshrrev_b32_e32 v1, 16, v1
	v_lshl_add_u32 v8, s6, 1, v1
	s_waitcnt lgkmcnt(0)
	v_cmp_gt_u64_e32 vcc_lo, s[0:1], v[8:9]
	s_and_saveexec_b32 s0, vcc_lo
	s_cbranch_execz .LBB0_15
; %bb.1:
	v_mul_lo_u16 v2, v1, 26
	s_clause 0x1
	s_load_dwordx2 s[24:25], s[4:5], 0x0
	s_load_dwordx2 s[6:7], s[4:5], 0x38
	v_and_b32_e32 v1, 1, v1
	v_sub_nc_u16 v0, v0, v2
	v_cmp_eq_u32_e32 vcc_lo, 1, v1
	v_and_b32_e32 v23, 0xffff, v0
	v_cndmask_b32_e64 v24, 0, 0x104, vcc_lo
	v_cmp_gt_u16_e32 vcc_lo, 20, v0
	v_lshlrev_b32_e32 v22, 2, v23
	v_or_b32_e32 v21, 0xa0, v23
	v_lshlrev_b32_e32 v25, 2, v24
	s_and_saveexec_b32 s1, vcc_lo
	s_cbranch_execz .LBB0_3
; %bb.2:
	s_load_dwordx2 s[8:9], s[4:5], 0x18
	v_lshl_add_u32 v32, v23, 2, v25
	v_add_nc_u32_e32 v35, v25, v22
	s_waitcnt lgkmcnt(0)
	s_load_dwordx4 s[8:11], s[8:9], 0x0
	s_clause 0x1
	global_load_dword v11, v22, s[24:25]
	global_load_dword v12, v22, s[24:25] offset:640
	s_waitcnt lgkmcnt(0)
	v_mad_u64_u32 v[0:1], null, s10, v8, 0
	v_mad_u64_u32 v[2:3], null, s8, v23, 0
	s_mul_i32 s0, s9, 0x50
	s_mul_hi_u32 s10, s8, 0x50
	s_add_i32 s10, s10, s0
	v_mad_u64_u32 v[4:5], null, s11, v8, v[1:2]
	v_mad_u64_u32 v[5:6], null, s8, v21, 0
	s_mul_i32 s11, s8, 0x50
	v_mad_u64_u32 v[9:10], null, s9, v23, v[3:4]
	v_mov_b32_e32 v1, v4
	v_mov_b32_e32 v4, v6
	v_lshlrev_b64 v[0:1], 2, v[0:1]
	v_mov_b32_e32 v3, v9
	v_mad_u64_u32 v[6:7], null, s9, v21, v[4:5]
	v_lshlrev_b64 v[2:3], 2, v[2:3]
	v_add_co_u32 v7, s0, s2, v0
	v_add_co_ci_u32_e64 v9, s0, s3, v1, s0
	v_add_co_u32 v0, s0, v7, v2
	v_add_co_ci_u32_e64 v1, s0, v9, v3, s0
	v_lshlrev_b64 v[2:3], 2, v[5:6]
	v_add_co_u32 v4, s0, v0, s11
	v_add_co_ci_u32_e64 v5, s0, s10, v1, s0
	global_load_dword v13, v[0:1], off
	v_add_co_u32 v2, s0, v7, v2
	v_add_co_ci_u32_e64 v3, s0, v9, v3, s0
	v_add_co_u32 v6, s0, v4, s11
	v_add_co_ci_u32_e64 v7, s0, s10, v5, s0
	s_clause 0x1
	global_load_dword v14, v[2:3], off
	global_load_dword v15, v[4:5], off
	v_add_co_u32 v0, s0, v6, s11
	v_add_co_ci_u32_e64 v1, s0, s10, v7, s0
	s_clause 0x1
	global_load_dword v16, v22, s[24:25] offset:80
	global_load_dword v17, v22, s[24:25] offset:160
	v_add_co_u32 v2, s0, v0, s11
	v_add_co_ci_u32_e64 v3, s0, s10, v1, s0
	global_load_dword v18, v[6:7], off
	v_add_co_u32 v4, s0, v2, s11
	v_add_co_ci_u32_e64 v5, s0, s10, v3, s0
	global_load_dword v19, v22, s[24:25] offset:240
	global_load_dword v20, v[0:1], off
	v_add_co_u32 v9, s0, v4, s11
	v_add_co_ci_u32_e64 v10, s0, s10, v5, s0
	global_load_dword v26, v[2:3], off
	global_load_dword v27, v22, s[24:25] offset:320
	global_load_dword v28, v[4:5], off
	global_load_dword v29, v22, s[24:25] offset:400
	v_add_co_u32 v6, s0, v9, s11
	v_add_co_ci_u32_e64 v7, s0, s10, v10, s0
	v_mad_u64_u32 v[0:1], null, 0xa0, s8, v[6:7]
	global_load_dword v9, v[9:10], off
	s_clause 0x1
	global_load_dword v10, v22, s[24:25] offset:480
	global_load_dword v30, v22, s[24:25] offset:560
	global_load_dword v6, v[6:7], off
	global_load_dword v7, v22, s[24:25] offset:720
	v_mad_u64_u32 v[1:2], null, 0xa0, s9, v[1:2]
	v_add_co_u32 v2, s0, v0, s11
	v_add_co_ci_u32_e64 v3, s0, s10, v1, s0
	global_load_dword v31, v[0:1], off
	v_add_co_u32 v0, s0, v2, s11
	v_add_co_ci_u32_e64 v1, s0, s10, v3, s0
	v_add_co_u32 v4, s0, v0, s11
	v_add_co_ci_u32_e64 v5, s0, s10, v1, s0
	global_load_dword v2, v[2:3], off
	global_load_dword v3, v22, s[24:25] offset:800
	global_load_dword v0, v[0:1], off
	global_load_dword v1, v[4:5], off
	s_clause 0x1
	global_load_dword v4, v22, s[24:25] offset:880
	global_load_dword v5, v22, s[24:25] offset:960
	s_waitcnt vmcnt(23)
	v_lshrrev_b32_e32 v33, 16, v13
	v_mul_f16_sdwa v34, v11, v13 dst_sel:DWORD dst_unused:UNUSED_PAD src0_sel:WORD_1 src1_sel:DWORD
	v_mul_f16_sdwa v38, v11, v33 dst_sel:DWORD dst_unused:UNUSED_PAD src0_sel:WORD_1 src1_sel:DWORD
	v_fma_f16 v33, v11, v33, -v34
	s_waitcnt vmcnt(22)
	v_lshrrev_b32_e32 v36, 16, v14
	s_waitcnt vmcnt(21)
	v_lshrrev_b32_e32 v34, 16, v15
	v_mul_f16_sdwa v37, v12, v14 dst_sel:DWORD dst_unused:UNUSED_PAD src0_sel:WORD_1 src1_sel:DWORD
	v_fmac_f16_e32 v38, v11, v13
	s_waitcnt vmcnt(20)
	v_mul_f16_sdwa v39, v16, v15 dst_sel:DWORD dst_unused:UNUSED_PAD src0_sel:WORD_1 src1_sel:DWORD
	v_mul_f16_sdwa v40, v12, v36 dst_sel:DWORD dst_unused:UNUSED_PAD src0_sel:WORD_1 src1_sel:DWORD
	;; [unrolled: 1-line block ×3, first 2 shown]
	v_fma_f16 v36, v12, v36, -v37
	v_fma_f16 v13, v16, v34, -v39
	s_waitcnt vmcnt(18)
	v_lshrrev_b32_e32 v34, 16, v18
	v_mul_f16_sdwa v37, v17, v18 dst_sel:DWORD dst_unused:UNUSED_PAD src0_sel:WORD_1 src1_sel:DWORD
	v_fmac_f16_e32 v40, v12, v14
	v_fmac_f16_e32 v11, v16, v15
	v_pack_b32_f16 v12, v38, v33
	v_mul_f16_sdwa v14, v17, v34 dst_sel:DWORD dst_unused:UNUSED_PAD src0_sel:WORD_1 src1_sel:DWORD
	s_waitcnt vmcnt(16)
	v_lshrrev_b32_e32 v16, 16, v20
	v_fma_f16 v15, v17, v34, -v37
	v_pack_b32_f16 v11, v11, v13
	s_waitcnt vmcnt(15)
	v_lshrrev_b32_e32 v13, 16, v26
	v_fmac_f16_e32 v14, v17, v18
	v_mul_f16_sdwa v33, v19, v20 dst_sel:DWORD dst_unused:UNUSED_PAD src0_sel:WORD_1 src1_sel:DWORD
	ds_write_b32 v32, v12
	v_mul_f16_sdwa v12, v19, v16 dst_sel:DWORD dst_unused:UNUSED_PAD src0_sel:WORD_1 src1_sel:DWORD
	s_waitcnt vmcnt(14)
	v_mul_f16_sdwa v17, v27, v26 dst_sel:DWORD dst_unused:UNUSED_PAD src0_sel:WORD_1 src1_sel:DWORD
	v_pack_b32_f16 v14, v14, v15
	v_mul_f16_sdwa v15, v27, v13 dst_sel:DWORD dst_unused:UNUSED_PAD src0_sel:WORD_1 src1_sel:DWORD
	v_fma_f16 v16, v19, v16, -v33
	v_fmac_f16_e32 v12, v19, v20
	v_fma_f16 v13, v27, v13, -v17
	s_waitcnt vmcnt(13)
	v_lshrrev_b32_e32 v17, 16, v28
	s_waitcnt vmcnt(12)
	v_mul_f16_sdwa v18, v29, v28 dst_sel:DWORD dst_unused:UNUSED_PAD src0_sel:WORD_1 src1_sel:DWORD
	ds_write2_b32 v35, v11, v14 offset0:20 offset1:40
	v_fmac_f16_e32 v15, v27, v26
	s_waitcnt vmcnt(11)
	v_lshrrev_b32_e32 v14, 16, v9
	v_pack_b32_f16 v11, v12, v16
	v_fma_f16 v16, v29, v17, -v18
	s_waitcnt vmcnt(8)
	v_lshrrev_b32_e32 v18, 16, v6
	v_mul_f16_sdwa v12, v29, v17 dst_sel:DWORD dst_unused:UNUSED_PAD src0_sel:WORD_1 src1_sel:DWORD
	v_mul_f16_sdwa v17, v10, v9 dst_sel:DWORD dst_unused:UNUSED_PAD src0_sel:WORD_1 src1_sel:DWORD
	v_pack_b32_f16 v13, v15, v13
	v_mul_f16_sdwa v15, v10, v14 dst_sel:DWORD dst_unused:UNUSED_PAD src0_sel:WORD_1 src1_sel:DWORD
	v_mul_f16_sdwa v20, v30, v18 dst_sel:DWORD dst_unused:UNUSED_PAD src0_sel:WORD_1 src1_sel:DWORD
	;; [unrolled: 1-line block ×3, first 2 shown]
	v_fma_f16 v14, v10, v14, -v17
	v_fmac_f16_e32 v12, v29, v28
	v_fmac_f16_e32 v15, v10, v9
	s_waitcnt vmcnt(6)
	v_lshrrev_b32_e32 v10, 16, v31
	v_fmac_f16_e32 v20, v30, v6
	v_mul_f16_sdwa v6, v7, v31 dst_sel:DWORD dst_unused:UNUSED_PAD src0_sel:WORD_1 src1_sel:DWORD
	v_fma_f16 v9, v30, v18, -v19
	v_pack_b32_f16 v14, v15, v14
	v_mul_f16_sdwa v15, v7, v10 dst_sel:DWORD dst_unused:UNUSED_PAD src0_sel:WORD_1 src1_sel:DWORD
	v_pack_b32_f16 v12, v12, v16
	v_fma_f16 v6, v7, v10, -v6
	s_waitcnt vmcnt(5)
	v_lshrrev_b32_e32 v10, 16, v2
	s_waitcnt vmcnt(4)
	v_mul_f16_sdwa v16, v3, v2 dst_sel:DWORD dst_unused:UNUSED_PAD src0_sel:WORD_1 src1_sel:DWORD
	v_fmac_f16_e32 v15, v7, v31
	s_waitcnt vmcnt(3)
	v_lshrrev_b32_e32 v7, 16, v0
	s_waitcnt vmcnt(2)
	v_lshrrev_b32_e32 v17, 16, v1
	v_mul_f16_sdwa v18, v3, v10 dst_sel:DWORD dst_unused:UNUSED_PAD src0_sel:WORD_1 src1_sel:DWORD
	v_pack_b32_f16 v9, v20, v9
	v_fma_f16 v10, v3, v10, -v16
	s_waitcnt vmcnt(1)
	v_mul_f16_sdwa v16, v4, v0 dst_sel:DWORD dst_unused:UNUSED_PAD src0_sel:WORD_1 src1_sel:DWORD
	v_mul_f16_sdwa v19, v4, v7 dst_sel:DWORD dst_unused:UNUSED_PAD src0_sel:WORD_1 src1_sel:DWORD
	s_waitcnt vmcnt(0)
	v_mul_f16_sdwa v20, v5, v17 dst_sel:DWORD dst_unused:UNUSED_PAD src0_sel:WORD_1 src1_sel:DWORD
	v_mul_f16_sdwa v26, v5, v1 dst_sel:DWORD dst_unused:UNUSED_PAD src0_sel:WORD_1 src1_sel:DWORD
	v_fmac_f16_e32 v18, v3, v2
	v_fma_f16 v2, v4, v7, -v16
	v_fmac_f16_e32 v19, v4, v0
	v_fmac_f16_e32 v20, v5, v1
	v_fma_f16 v0, v5, v17, -v26
	v_pack_b32_f16 v1, v40, v36
	v_pack_b32_f16 v3, v15, v6
	;; [unrolled: 1-line block ×5, first 2 shown]
	ds_write2_b32 v35, v11, v13 offset0:60 offset1:80
	ds_write2_b32 v35, v12, v14 offset0:100 offset1:120
	ds_write2_b32 v35, v9, v1 offset0:140 offset1:160
	ds_write2_b32 v35, v3, v4 offset0:180 offset1:200
	ds_write2_b32 v35, v2, v0 offset0:220 offset1:240
.LBB0_3:
	s_or_b32 exec_lo, exec_lo, s1
	s_clause 0x1
	s_load_dwordx2 s[8:9], s[4:5], 0x20
	s_load_dwordx2 s[2:3], s[4:5], 0x8
	v_mov_b32_e32 v6, 0
	s_waitcnt lgkmcnt(0)
	s_barrier
	buffer_gl0_inv
                                        ; implicit-def: $vgpr15
                                        ; implicit-def: $vgpr1
                                        ; implicit-def: $vgpr3
                                        ; implicit-def: $vgpr5
                                        ; implicit-def: $vgpr12
                                        ; implicit-def: $vgpr14
	s_and_saveexec_b32 s0, vcc_lo
	s_cbranch_execz .LBB0_5
; %bb.4:
	v_lshl_add_u32 v9, v24, 2, v22
	ds_read2_b32 v[6:7], v9 offset1:20
	ds_read2_b32 v[13:14], v9 offset0:40 offset1:60
	ds_read2_b32 v[11:12], v9 offset0:80 offset1:100
	;; [unrolled: 1-line block ×5, first 2 shown]
	ds_read_b32 v15, v9 offset:960
.LBB0_5:
	s_or_b32 exec_lo, exec_lo, s0
	s_waitcnt lgkmcnt(0)
	v_pk_add_f16 v16, v7, v15 neg_lo:[0,1] neg_hi:[0,1]
	v_mov_b32_e32 v9, 0xb770
	v_mov_b32_e32 v83, 0xbbf1
	v_pk_add_f16 v18, v15, v7
	v_pk_add_f16 v17, v13, v1 neg_lo:[0,1] neg_hi:[0,1]
	v_mov_b32_e32 v79, 0xba95
	v_mul_f16_sdwa v34, v16, v9 dst_sel:DWORD dst_unused:UNUSED_PAD src0_sel:WORD_1 src1_sel:DWORD
	v_mul_f16_sdwa v42, v16, v83 dst_sel:DWORD dst_unused:UNUSED_PAD src0_sel:WORD_1 src1_sel:DWORD
	v_mov_b32_e32 v29, 0xb3a8
	v_lshrrev_b32_e32 v49, 16, v18
	v_mul_f16_e32 v39, 0xba95, v16
	v_mul_f16_e32 v46, 0xbbf1, v16
	v_fmamk_f16 v9, v18, 0x3b15, v34
	v_fmamk_f16 v19, v18, 0x2fb7, v42
	v_pk_add_f16 v20, v1, v13
	v_mul_f16_sdwa v37, v17, v79 dst_sel:DWORD dst_unused:UNUSED_PAD src0_sel:WORD_1 src1_sel:DWORD
	v_mul_f16_sdwa v47, v17, v29 dst_sel:DWORD dst_unused:UNUSED_PAD src0_sel:WORD_1 src1_sel:DWORD
	v_fma_f16 v10, v49, 0x388b, -v39
	v_fma_f16 v26, v49, 0x2fb7, -v46
	v_add_f16_e32 v9, v9, v6
	v_add_f16_e32 v28, v19, v6
	v_lshrrev_b32_e32 v54, 16, v20
	v_mul_f16_e32 v43, 0xbb7b, v17
	v_mul_f16_e32 v53, 0xb3a8, v17
	v_fmamk_f16 v30, v20, 0x388b, v37
	v_pk_add_f16 v19, v14, v0 neg_lo:[0,1] neg_hi:[0,1]
	v_fmamk_f16 v32, v20, 0xbbc4, v47
	v_add_f16_sdwa v10, v10, v6 dst_sel:DWORD dst_unused:UNUSED_PAD src0_sel:DWORD src1_sel:WORD_1
	v_add_f16_sdwa v26, v26, v6 dst_sel:DWORD dst_unused:UNUSED_PAD src0_sel:DWORD src1_sel:WORD_1
	v_fma_f16 v31, v54, 0xb5ac, -v43
	v_fma_f16 v33, v54, 0xbbc4, -v53
	v_pk_add_f16 v27, v0, v14
	v_mul_f16_sdwa v38, v19, v83 dst_sel:DWORD dst_unused:UNUSED_PAD src0_sel:WORD_1 src1_sel:DWORD
	v_add_f16_e32 v9, v30, v9
	v_add_f16_e32 v30, v32, v28
	v_mov_b32_e32 v32, 0x3b7b
	v_pk_add_f16 v28, v11, v3 neg_lo:[0,1] neg_hi:[0,1]
	v_mov_b32_e32 v80, 0xbb7b
	v_add_f16_e32 v10, v31, v10
	v_add_f16_e32 v26, v33, v26
	v_fmamk_f16 v31, v27, 0x2fb7, v38
	v_lshrrev_b32_e32 v60, 16, v27
	v_mul_f16_e32 v50, 0xb3a8, v19
	v_mul_f16_sdwa v52, v19, v32 dst_sel:DWORD dst_unused:UNUSED_PAD src0_sel:WORD_1 src1_sel:DWORD
	v_mul_f16_e32 v62, 0x3b7b, v19
	v_pk_add_f16 v33, v3, v11
	v_mul_f16_sdwa v40, v28, v80 dst_sel:DWORD dst_unused:UNUSED_PAD src0_sel:WORD_1 src1_sel:DWORD
	v_fma_f16 v32, v60, 0xbbc4, -v50
	v_fmamk_f16 v35, v27, 0xb5ac, v52
	v_add_f16_e32 v9, v31, v9
	v_fma_f16 v31, v60, 0xb5ac, -v62
	v_fmamk_f16 v36, v33, 0xb5ac, v40
	v_mov_b32_e32 v82, 0x3770
	v_lshrrev_b32_e32 v64, 16, v33
	v_mul_f16_e32 v48, 0x394e, v28
	v_add_f16_e32 v10, v32, v10
	v_add_f16_e32 v30, v35, v30
	;; [unrolled: 1-line block ×4, first 2 shown]
	v_mul_f16_sdwa v57, v28, v82 dst_sel:DWORD dst_unused:UNUSED_PAD src0_sel:WORD_1 src1_sel:DWORD
	v_mul_f16_e32 v63, 0x3770, v28
	v_pk_add_f16 v35, v12, v2 neg_lo:[0,1] neg_hi:[0,1]
	v_mov_b32_e32 v84, 0xb94e
	v_pk_add_f16 v36, v2, v12
	v_fma_f16 v31, v64, 0xb9fd, -v48
	v_fmamk_f16 v32, v33, 0x3b15, v57
	v_fma_f16 v41, v64, 0x3b15, -v63
	v_mul_f16_sdwa v45, v35, v84 dst_sel:DWORD dst_unused:UNUSED_PAD src0_sel:WORD_1 src1_sel:DWORD
	v_lshrrev_b32_e32 v66, 16, v36
	v_mul_f16_e32 v51, 0x3bf1, v35
	v_add_f16_e32 v10, v31, v10
	v_pk_mul_f16 v31, 0x3b15388b, v18
	v_add_f16_e32 v30, v32, v30
	v_add_f16_e32 v26, v41, v26
	v_fmamk_f16 v32, v36, 0xb9fd, v45
	v_fma_f16 v41, v66, 0x2fb7, -v51
	v_mul_f16_sdwa v65, v35, v79 dst_sel:DWORD dst_unused:UNUSED_PAD src0_sel:WORD_1 src1_sel:DWORD
	v_pk_mul_f16 v67, 0x388bb5ac, v20
	v_pk_fma_f16 v55, 0xba95b770, v16, v31 op_sel:[0,0,1] op_sel_hi:[1,1,0]
	v_mul_f16_e32 v76, 0xba95, v35
	v_add_f16_e32 v9, v32, v9
	v_add_f16_e32 v32, v41, v10
	v_fmamk_f16 v10, v36, 0x388b, v65
	v_pk_fma_f16 v56, 0xbb7bba95, v17, v67 op_sel:[0,0,1] op_sel_hi:[1,1,0]
	v_add_f16_sdwa v44, v55, v6 dst_sel:DWORD dst_unused:UNUSED_PAD src0_sel:WORD_1 src1_sel:DWORD
	v_pk_mul_f16 v70, 0x2fb7bbc4, v27
	v_pk_add_f16 v41, v4, v5 neg_lo:[0,1] neg_hi:[0,1]
	v_fma_f16 v68, v66, 0x388b, -v76
	v_add_f16_e32 v10, v10, v30
	v_add_f16_sdwa v30, v56, v44 dst_sel:DWORD dst_unused:UNUSED_PAD src0_sel:WORD_1 src1_sel:DWORD
	v_pk_fma_f16 v59, 0xb3a8bbf1, v19, v70 op_sel:[0,0,1] op_sel_hi:[1,1,0]
	v_pk_mul_f16 v71, 0xb5acb9fd, v33
	v_mul_f16_sdwa v58, v41, v29 dst_sel:DWORD dst_unused:UNUSED_PAD src0_sel:WORD_1 src1_sel:DWORD
	v_pk_add_f16 v44, v5, v4
	v_add_f16_e32 v26, v68, v26
	v_pk_fma_f16 v68, 0xba95b770, v16, v31 op_sel:[0,0,1] op_sel_hi:[1,1,0] neg_lo:[0,1,0] neg_hi:[0,1,0]
	v_add_f16_sdwa v29, v59, v30 dst_sel:DWORD dst_unused:UNUSED_PAD src0_sel:WORD_1 src1_sel:DWORD
	v_pk_fma_f16 v61, 0x394ebb7b, v28, v71 op_sel:[0,0,1] op_sel_hi:[1,1,0]
	v_fmamk_f16 v31, v44, 0xbbc4, v58
	v_pk_fma_f16 v69, 0xbb7bba95, v17, v67 op_sel:[0,0,1] op_sel_hi:[1,1,0] neg_lo:[0,1,0] neg_hi:[0,1,0]
	v_add_f16_sdwa v73, v68, v6 dst_sel:DWORD dst_unused:UNUSED_PAD src0_sel:DWORD src1_sel:WORD_1
	v_pk_mul_f16 v30, 0xb9fd2fb7, v36
	v_add_f16_sdwa v72, v61, v29 dst_sel:DWORD dst_unused:UNUSED_PAD src0_sel:WORD_1 src1_sel:DWORD
	v_add_f16_e32 v29, v31, v9
	v_pk_fma_f16 v70, 0xb3a8bbf1, v19, v70 op_sel:[0,0,1] op_sel_hi:[1,1,0] neg_lo:[0,1,0] neg_hi:[0,1,0]
	v_add_f16_e32 v9, v69, v73
	v_pk_fma_f16 v67, 0x3bf1b94e, v35, v30 op_sel:[0,0,1] op_sel_hi:[1,1,0]
	v_pk_fma_f16 v71, 0x394ebb7b, v28, v71 op_sel:[0,0,1] op_sel_hi:[1,1,0] neg_lo:[0,1,0] neg_hi:[0,1,0]
	v_mul_f16_sdwa v75, v41, v84 dst_sel:DWORD dst_unused:UNUSED_PAD src0_sel:WORD_1 src1_sel:DWORD
	v_pk_mul_f16 v74, 0xbbc43b15, v44
	v_add_f16_e32 v9, v70, v9
	v_add_f16_sdwa v31, v67, v72 dst_sel:DWORD dst_unused:UNUSED_PAD src0_sel:WORD_1 src1_sel:DWORD
	v_lshrrev_b32_e32 v81, 16, v44
	v_mul_f16_e32 v77, 0x3770, v41
	v_mul_f16_e32 v78, 0xb94e, v41
	v_pk_fma_f16 v72, 0x3bf1b94e, v35, v30 op_sel:[0,0,1] op_sel_hi:[1,1,0] neg_lo:[0,1,0] neg_hi:[0,1,0]
	v_add_f16_e32 v9, v71, v9
	v_fmamk_f16 v85, v44, 0xb9fd, v75
	v_pk_fma_f16 v73, 0x3770b3a8, v41, v74 op_sel:[0,0,1] op_sel_hi:[1,1,0]
	v_fma_f16 v30, v81, 0x3b15, -v77
	v_fma_f16 v86, v81, 0xb9fd, -v78
	v_pk_fma_f16 v74, 0x3770b3a8, v41, v74 op_sel:[0,0,1] op_sel_hi:[1,1,0] neg_lo:[0,1,0] neg_hi:[0,1,0]
	v_add_f16_e32 v87, v72, v9
	v_add_f16_e32 v9, v85, v10
	v_add_f16_sdwa v10, v73, v31 dst_sel:DWORD dst_unused:UNUSED_PAD src0_sel:WORD_1 src1_sel:DWORD
	v_add_f16_e32 v31, v30, v32
	v_add_f16_e32 v32, v86, v26
	;; [unrolled: 1-line block ×3, first 2 shown]
	v_mul_lo_u16 v26, v23, 13
	s_barrier
	buffer_gl0_inv
	s_and_saveexec_b32 s0, vcc_lo
	s_cbranch_execz .LBB0_7
; %bb.6:
	v_mul_f16_e32 v85, 0xb5ac, v49
	v_mul_f16_sdwa v86, v16, v80 dst_sel:DWORD dst_unused:UNUSED_PAD src0_sel:WORD_1 src1_sel:DWORD
	v_mov_b32_e32 v87, 0x394e
	v_mul_f16_e32 v88, 0xb9fd, v54
	v_mul_f16_sdwa v91, v19, v82 dst_sel:DWORD dst_unused:UNUSED_PAD src0_sel:WORD_1 src1_sel:DWORD
	v_fmamk_f16 v90, v16, 0x3b7b, v85
	v_fmamk_f16 v92, v18, 0xb5ac, v86
	v_mul_f16_sdwa v87, v17, v87 dst_sel:DWORD dst_unused:UNUSED_PAD src0_sel:WORD_1 src1_sel:DWORD
	v_fmamk_f16 v93, v17, 0xb94e, v88
	v_mul_f16_e32 v89, 0x3b15, v60
	v_add_f16_sdwa v90, v90, v6 dst_sel:DWORD dst_unused:UNUSED_PAD src0_sel:DWORD src1_sel:WORD_1
	v_add_f16_e32 v92, v92, v6
	v_fmamk_f16 v95, v20, 0xb9fd, v87
	v_mul_f16_sdwa v83, v28, v83 dst_sel:DWORD dst_unused:UNUSED_PAD src0_sel:WORD_1 src1_sel:DWORD
	v_mul_f16_e32 v94, 0x2fb7, v64
	v_add_f16_e32 v90, v93, v90
	v_fmamk_f16 v93, v27, 0x3b15, v91
	v_add_f16_e32 v92, v95, v92
	v_fmamk_f16 v96, v19, 0xb770, v89
	v_fmamk_f16 v97, v33, 0x2fb7, v83
	;; [unrolled: 1-line block ×3, first 2 shown]
	v_mul_f16_e32 v99, 0x2fb7, v54
	v_add_f16_e32 v92, v93, v92
	v_mul_f16_e32 v93, 0xb9fd, v49
	v_add_f16_e32 v90, v96, v90
	v_mul_f16_e32 v96, 0xbbc4, v66
	v_mov_b32_e32 v98, 0x33a8
	v_add_f16_e32 v92, v97, v92
	v_fmamk_f16 v97, v16, 0x394e, v93
	v_add_f16_e32 v90, v95, v90
	v_fmamk_f16 v95, v35, 0xb3a8, v96
	v_mul_f16_e32 v100, 0x388b, v81
	v_fmamk_f16 v101, v17, 0xbbf1, v99
	v_add_f16_sdwa v97, v97, v6 dst_sel:DWORD dst_unused:UNUSED_PAD src0_sel:DWORD src1_sel:WORD_1
	v_mul_f16_e32 v102, 0x388b, v60
	v_add_f16_e32 v90, v95, v90
	v_mul_f16_sdwa v95, v35, v98 dst_sel:DWORD dst_unused:UNUSED_PAD src0_sel:WORD_1 src1_sel:DWORD
	v_fmamk_f16 v104, v41, 0xba95, v100
	v_mov_b32_e32 v105, 0x3a95
	v_add_f16_e32 v97, v101, v97
	v_fmamk_f16 v101, v19, 0x3a95, v102
	v_fmamk_f16 v103, v36, 0xbbc4, v95
	v_add_f16_e32 v90, v104, v90
	v_mul_f16_sdwa v104, v41, v105 dst_sel:DWORD dst_unused:UNUSED_PAD src0_sel:WORD_1 src1_sel:DWORD
	v_mul_f16_sdwa v84, v16, v84 dst_sel:DWORD dst_unused:UNUSED_PAD src0_sel:WORD_1 src1_sel:DWORD
	v_add_f16_e32 v97, v101, v97
	v_mov_b32_e32 v101, 0x3bf1
	v_add_f16_e32 v92, v103, v92
	v_fmamk_f16 v107, v44, 0x388b, v104
	v_fmamk_f16 v108, v18, 0xb9fd, v84
	v_fma_f16 v84, v18, 0xb9fd, -v84
	v_mul_f16_sdwa v101, v17, v101 dst_sel:DWORD dst_unused:UNUSED_PAD src0_sel:WORD_1 src1_sel:DWORD
	v_mul_f16_sdwa v79, v19, v79 dst_sel:DWORD dst_unused:UNUSED_PAD src0_sel:WORD_1 src1_sel:DWORD
	v_add_f16_e32 v92, v107, v92
	v_add_f16_e32 v107, v108, v6
	;; [unrolled: 1-line block ×3, first 2 shown]
	v_fmamk_f16 v108, v20, 0x2fb7, v101
	v_fma_f16 v101, v20, 0x2fb7, -v101
	v_fmac_f16_e32 v93, 0xb94e, v16
	v_mul_f16_sdwa v98, v28, v98 dst_sel:DWORD dst_unused:UNUSED_PAD src0_sel:WORD_1 src1_sel:DWORD
	v_fmac_f16_e32 v99, 0x3bf1, v17
	v_add_f16_e32 v107, v108, v107
	v_fmamk_f16 v108, v27, 0x388b, v79
	v_add_f16_e32 v84, v101, v84
	v_fma_f16 v79, v27, 0x388b, -v79
	v_add_f16_sdwa v93, v93, v6 dst_sel:DWORD dst_unused:UNUSED_PAD src0_sel:DWORD src1_sel:WORD_1
	v_mul_f16_sdwa v82, v35, v82 dst_sel:DWORD dst_unused:UNUSED_PAD src0_sel:WORD_1 src1_sel:DWORD
	v_add_f16_e32 v107, v108, v107
	v_fmamk_f16 v108, v33, 0xbbc4, v98
	v_add_f16_e32 v79, v79, v84
	v_fma_f16 v84, v33, 0xbbc4, -v98
	v_mul_f16_e32 v103, 0xbbc4, v64
	v_add_f16_e32 v93, v99, v93
	v_add_f16_e32 v99, v108, v107
	v_fmamk_f16 v107, v36, 0x3b15, v82
	v_mul_f16_sdwa v80, v41, v80 dst_sel:DWORD dst_unused:UNUSED_PAD src0_sel:WORD_1 src1_sel:DWORD
	v_fmac_f16_e32 v85, 0xbb7b, v16
	v_add_f16_e32 v79, v84, v79
	v_fma_f16 v82, v36, 0x3b15, -v82
	v_fmamk_f16 v105, v28, 0xb3a8, v103
	v_mul_f16_e32 v106, 0x3b15, v66
	v_fmac_f16_e32 v102, 0xba95, v19
	v_add_f16_sdwa v85, v85, v6 dst_sel:DWORD dst_unused:UNUSED_PAD src0_sel:DWORD src1_sel:WORD_1
	v_fmac_f16_e32 v88, 0x394e, v17
	v_fmamk_f16 v101, v44, 0xb5ac, v80
	v_add_f16_e32 v79, v82, v79
	v_fma_f16 v80, v44, 0xb5ac, -v80
	v_fma_f16 v82, v18, 0xb5ac, -v86
	v_alignbit_b32 v86, v6, v6, 16
	v_add_f16_e32 v97, v105, v97
	v_fmamk_f16 v105, v35, 0xb770, v106
	v_add_f16_e32 v93, v102, v93
	v_fmac_f16_e32 v103, 0x33a8, v28
	v_add_f16_e32 v85, v88, v85
	v_fmac_f16_e32 v89, 0x3770, v19
	v_add_f16_e32 v79, v80, v79
	v_add_f16_e32 v80, v82, v6
	v_fma_f16 v82, v20, 0xb9fd, -v87
	v_pk_add_f16 v7, v7, v86 op_sel:[0,1] op_sel_hi:[1,0]
	v_add_f16_e32 v97, v105, v97
	v_mul_f16_e32 v105, 0xb5ac, v81
	v_add_f16_e32 v93, v103, v93
	v_fmac_f16_e32 v106, 0x3770, v35
	v_add_f16_e32 v85, v89, v85
	v_mul_f16_e32 v89, 0x388b, v49
	v_add_f16_e32 v80, v82, v80
	v_fma_f16 v82, v27, 0x3b15, -v91
	v_pk_add_f16 v7, v13, v7
	v_fmamk_f16 v109, v41, 0x3b7b, v105
	v_add_f16_e32 v93, v106, v93
	v_fmac_f16_e32 v105, 0xbb7b, v41
	v_mul_f16_e32 v87, 0x3b15, v18
	v_mul_f16_e32 v91, 0x2fb7, v18
	v_mul_f16_e32 v49, 0x2fb7, v49
	v_add_f16_e32 v80, v82, v80
	v_fma_f16 v82, v33, 0x2fb7, -v83
	v_mul_f16_e32 v83, 0xb5ac, v54
	v_mul_f16_e32 v54, 0xbbc4, v54
	v_add_f16_e32 v39, v39, v89
	v_pk_add_f16 v7, v14, v7
	v_add_f16_e32 v88, v105, v93
	v_mul_f16_e32 v93, 0x388b, v20
	v_add_f16_e32 v46, v46, v49
	v_add_f16_e32 v53, v53, v54
	v_mul_f16_e32 v54, 0xbbc4, v60
	v_mul_f16_e32 v60, 0xb5ac, v60
	v_sub_f16_e32 v42, v91, v42
	v_add_f16_sdwa v39, v39, v6 dst_sel:DWORD dst_unused:UNUSED_PAD src0_sel:DWORD src1_sel:WORD_1
	v_add_f16_e32 v43, v43, v83
	v_sub_f16_e32 v34, v87, v34
	v_pk_add_f16 v7, v11, v7
	v_mul_f16_e32 v49, 0xbbc4, v20
	v_add_f16_e32 v80, v82, v80
	v_mul_f16_e32 v82, 0x2fb7, v27
	v_add_f16_sdwa v46, v46, v6 dst_sel:DWORD dst_unused:UNUSED_PAD src0_sel:DWORD src1_sel:WORD_1
	v_add_f16_e32 v60, v62, v60
	v_mul_f16_e32 v62, 0xb9fd, v64
	v_add_f16_e32 v42, v42, v6
	v_add_f16_e32 v39, v43, v39
	;; [unrolled: 1-line block ×4, first 2 shown]
	v_sub_f16_e32 v34, v93, v37
	v_pk_add_f16 v7, v12, v7
	v_add_f16_e32 v46, v53, v46
	v_mul_f16_e32 v53, 0xb5ac, v33
	v_sub_f16_e32 v47, v49, v47
	v_mul_f16_e32 v49, 0x2fb7, v66
	v_add_f16_e32 v39, v43, v39
	v_add_f16_e32 v43, v48, v62
	;; [unrolled: 1-line block ×3, first 2 shown]
	v_sub_f16_e32 v11, v82, v38
	v_pk_add_f16 v4, v4, v7
	v_add_f16_e32 v46, v60, v46
	v_mul_f16_e32 v60, 0xb9fd, v36
	v_mul_f16_e32 v89, 0x3b15, v81
	v_add_f16_e32 v13, v43, v39
	v_add_f16_e32 v39, v51, v49
	;; [unrolled: 1-line block ×3, first 2 shown]
	v_sub_f16_e32 v11, v53, v40
	v_pk_add_f16 v4, v5, v4
	v_fmac_f16_e32 v94, 0xbbf1, v28
	v_add_f16_e32 v42, v47, v42
	v_mul_f16_e32 v47, 0xbbc4, v44
	v_add_f16_e32 v13, v39, v13
	v_add_f16_e32 v37, v77, v89
	v_bfi_b32 v12, 0xffff, v55, v68
	v_add_f16_e32 v6, v11, v6
	v_sub_f16_e32 v11, v60, v45
	v_pk_add_f16 v2, v2, v4
	v_add_f16_e32 v85, v94, v85
	v_fma_f16 v94, v36, 0xbbc4, -v95
	v_add_f16_e32 v13, v37, v13
	v_bfi_b32 v37, 0xffff, v56, v69
	v_add_f16_e32 v6, v11, v6
	v_sub_f16_e32 v11, v47, v58
	v_and_b32_e32 v4, 0xffff, v26
	v_pk_add_f16 v12, v12, v86
	v_pk_mul_f16 v18, 0xbbc4, v18 op_sel_hi:[0,1]
	v_pk_add_f16 v2, v3, v2
	v_add_f16_e32 v80, v94, v80
	v_mul_f16_e32 v94, 0xb5ac, v27
	v_bfi_b32 v7, 0xffff, v59, v70
	v_add_f16_e32 v6, v11, v6
	v_add_lshl_u32 v3, v24, v4, 2
	v_pk_add_f16 v4, v37, v12
	v_pk_fma_f16 v11, 0xb3a8, v16, v18 op_sel:[0,0,1] op_sel_hi:[0,1,0] neg_lo:[0,1,0] neg_hi:[0,1,0]
	v_pk_mul_f16 v12, 0x3b15, v20 op_sel_hi:[0,1]
	v_pk_add_f16 v0, v0, v2
	v_pk_fma_f16 v2, 0xb3a8, v16, v18 op_sel:[0,0,1] op_sel_hi:[0,1,0]
	v_mul_f16_e32 v91, 0x3b15, v33
	v_mul_f16_e32 v64, 0x3b15, v64
	v_sub_f16_e32 v52, v94, v52
	v_bfi_b32 v38, 0xffff, v61, v71
	v_pk_add_f16 v4, v7, v4
	v_pk_add_f16 v7, v11, v86
	v_pk_fma_f16 v11, 0x3770, v17, v12 op_sel:[0,0,1] op_sel_hi:[0,1,0] neg_lo:[0,1,0] neg_hi:[0,1,0]
	v_pk_mul_f16 v16, 0xb9fd, v27 op_sel_hi:[0,1]
	v_pk_add_f16 v2, v2, v86
	v_pk_fma_f16 v12, 0x3770, v17, v12 op_sel:[0,0,1] op_sel_hi:[0,1,0]
	v_add_f16_e32 v63, v63, v64
	v_mul_f16_e32 v64, 0x388b, v36
	v_mul_f16_e32 v66, 0x388b, v66
	v_add_f16_e32 v42, v52, v42
	v_sub_f16_e32 v52, v91, v57
	v_bfi_b32 v5, 0xffff, v67, v72
	v_pk_add_f16 v4, v38, v4
	v_pk_add_f16 v7, v11, v7
	v_pk_fma_f16 v11, 0xb94e, v19, v16 op_sel:[0,0,1] op_sel_hi:[0,1,0] neg_lo:[0,1,0] neg_hi:[0,1,0]
	v_pk_mul_f16 v17, 0x388b, v33 op_sel_hi:[0,1]
	v_pk_add_f16 v2, v12, v2
	v_pk_fma_f16 v12, 0xb94e, v19, v16 op_sel:[0,0,1] op_sel_hi:[0,1,0]
	v_fmac_f16_e32 v96, 0x33a8, v35
	v_mul_f16_e32 v94, 0xb9fd, v44
	v_mul_f16_e32 v81, 0xb9fd, v81
	v_add_f16_e32 v46, v63, v46
	v_add_f16_e32 v63, v76, v66
	;; [unrolled: 1-line block ×3, first 2 shown]
	v_sub_f16_e32 v52, v64, v65
	v_pk_add_f16 v4, v5, v4
	v_pk_add_f16 v5, v11, v7
	v_pk_fma_f16 v7, 0x3a95, v28, v17 op_sel:[0,0,1] op_sel_hi:[0,1,0] neg_lo:[0,1,0] neg_hi:[0,1,0]
	v_pk_mul_f16 v11, 0xb5ac, v36 op_sel_hi:[0,1]
	v_pk_add_f16 v2, v12, v2
	v_pk_fma_f16 v12, 0x3a95, v28, v17 op_sel:[0,0,1] op_sel_hi:[0,1,0]
	v_bfi_b32 v39, 0xffff, v73, v74
	v_add_f16_e32 v85, v96, v85
	v_fmac_f16_e32 v100, 0x3a95, v41
	v_fma_f16 v95, v44, 0x388b, -v104
	v_add_f16_e32 v46, v63, v46
	v_add_f16_e32 v48, v78, v81
	;; [unrolled: 1-line block ×3, first 2 shown]
	v_sub_f16_e32 v14, v94, v75
	v_pk_add_f16 v5, v7, v5
	v_pk_fma_f16 v7, 0xbb7b, v35, v11 op_sel:[0,0,1] op_sel_hi:[0,1,0] neg_lo:[0,1,0] neg_hi:[0,1,0]
	v_pk_mul_f16 v16, 0x2fb7, v44 op_sel_hi:[0,1]
	v_pk_add_f16 v2, v12, v2
	v_pk_fma_f16 v11, 0xbb7b, v35, v11 op_sel:[0,0,1] op_sel_hi:[0,1,0]
	v_pk_add_f16 v4, v39, v4
	v_add_f16_e32 v85, v100, v85
	v_add_f16_e32 v50, v95, v80
	;; [unrolled: 1-line block ×4, first 2 shown]
	v_pk_add_f16 v5, v7, v5
	v_pk_fma_f16 v7, 0x3bf1, v41, v16 op_sel:[0,0,1] op_sel_hi:[0,1,0] neg_lo:[0,1,0] neg_hi:[0,1,0]
	v_pk_add_f16 v2, v11, v2
	v_pk_fma_f16 v11, 0x3bf1, v41, v16 op_sel:[0,0,1] op_sel_hi:[0,1,0]
	v_add_f16_e32 v99, v107, v99
	v_pk_add_f16 v0, v1, v0
	v_alignbit_b32 v1, v13, v4, 16
	v_pack_b32_f16 v4, v6, v4
	v_pack_b32_f16 v6, v14, v34
	;; [unrolled: 1-line block ×3, first 2 shown]
	v_pk_add_f16 v5, v7, v5
	v_pk_add_f16 v2, v11, v2
	v_add_f16_e32 v97, v109, v97
	v_add_f16_e32 v84, v101, v99
	v_pk_add_f16 v0, v15, v0
	ds_write2_b32 v3, v4, v1 offset0:1 offset1:2
	ds_write2_b32 v3, v6, v12 offset0:3 offset1:4
	v_pack_b32_f16 v1, v79, v88
	v_alignbit_b32 v4, v5, v2, 16
	v_alignbit_b32 v2, v2, v5, 16
	v_pack_b32_f16 v5, v92, v90
	v_pack_b32_f16 v6, v84, v97
	v_perm_b32 v7, v31, v10, 0x5040100
	v_perm_b32 v11, v32, v9, 0x5040100
	;; [unrolled: 1-line block ×3, first 2 shown]
	ds_write2_b32 v3, v0, v1 offset1:5
	ds_write2_b32 v3, v2, v4 offset0:6 offset1:7
	ds_write2_b32 v3, v6, v5 offset0:8 offset1:9
	;; [unrolled: 1-line block ×3, first 2 shown]
	ds_write_b32 v3, v12 offset:48
.LBB0_7:
	s_or_b32 exec_lo, exec_lo, s0
	v_add_nc_u32_e32 v0, -13, v23
	v_cmp_gt_u16_e64 s0, 13, v23
	s_load_dwordx4 s[20:23], s[8:9], 0x0
	s_waitcnt lgkmcnt(0)
	s_barrier
	buffer_gl0_inv
	v_cndmask_b32_e64 v27, v0, v23, s0
	v_add_lshl_u32 v28, v24, v23, 2
	v_mul_i32_i24_e32 v0, 36, v27
	v_mul_hi_i32_i24_e32 v1, 36, v27
	v_add_co_u32 v11, s0, s2, v0
	v_add_co_ci_u32_e64 v12, s0, s3, v1, s0
	v_cmp_lt_u16_e64 s0, 12, v23
	s_clause 0x2
	global_load_dwordx4 v[4:7], v[11:12], off
	global_load_dwordx4 v[0:3], v[11:12], off offset:16
	global_load_dword v34, v[11:12], off offset:32
	ds_read2_b32 v[11:12], v28 offset1:26
	ds_read2_b32 v[13:14], v28 offset0:52 offset1:78
	ds_read2_b32 v[15:16], v28 offset0:104 offset1:130
	ds_read2_b32 v[17:18], v28 offset0:156 offset1:182
	ds_read2_b32 v[19:20], v28 offset0:208 offset1:234
	v_cndmask_b32_e64 v33, 0, 0x82, s0
	s_waitcnt vmcnt(0) lgkmcnt(0)
	s_barrier
	buffer_gl0_inv
	v_add_nc_u32_e32 v27, v27, v33
	v_add_lshl_u32 v33, v24, v27, 2
	v_lshrrev_b32_e32 v35, 16, v12
	v_lshrrev_b32_e32 v36, 16, v13
	;; [unrolled: 1-line block ×10, first 2 shown]
	v_mul_f16_sdwa v44, v35, v4 dst_sel:DWORD dst_unused:UNUSED_PAD src0_sel:DWORD src1_sel:WORD_1
	v_mul_f16_sdwa v45, v12, v4 dst_sel:DWORD dst_unused:UNUSED_PAD src0_sel:DWORD src1_sel:WORD_1
	;; [unrolled: 1-line block ×18, first 2 shown]
	v_fma_f16 v12, v12, v4, -v44
	v_fmac_f16_e32 v45, v35, v4
	v_fma_f16 v13, v13, v5, -v46
	v_fmac_f16_e32 v47, v36, v5
	;; [unrolled: 2-line block ×9, first 2 shown]
	v_add_f16_e32 v35, v11, v13
	v_add_f16_e32 v36, v15, v17
	v_sub_f16_e32 v39, v13, v15
	v_sub_f16_e32 v40, v19, v17
	v_sub_f16_e32 v42, v15, v13
	v_sub_f16_e32 v43, v17, v19
	v_add_f16_e32 v44, v27, v47
	v_sub_f16_e32 v50, v47, v51
	v_sub_f16_e32 v52, v59, v55
	v_add_f16_e32 v58, v12, v14
	v_add_f16_e32 v60, v16, v18
	;; [unrolled: 1-line block ×6, first 2 shown]
	v_sub_f16_e32 v37, v47, v59
	v_sub_f16_e32 v38, v51, v55
	v_add_f16_e32 v41, v13, v19
	v_add_f16_e32 v46, v51, v55
	v_sub_f16_e32 v48, v15, v17
	v_add_f16_e32 v54, v47, v59
	v_sub_f16_e32 v47, v51, v47
	v_sub_f16_e32 v62, v49, v61
	;; [unrolled: 1-line block ×6, first 2 shown]
	v_add_f16_e32 v15, v35, v15
	v_fma_f16 v35, -0.5, v36, v11
	v_add_f16_e32 v36, v39, v40
	v_add_f16_e32 v39, v42, v43
	;; [unrolled: 1-line block ×5, first 2 shown]
	v_fma_f16 v44, -0.5, v60, v12
	v_add_f16_e32 v50, v69, v53
	v_fma_f16 v51, -0.5, v70, v45
	v_sub_f16_e32 v56, v55, v59
	v_sub_f16_e32 v63, v53, v57
	v_fmac_f16_e32 v12, -0.5, v66
	v_fmac_f16_e32 v45, -0.5, v74
	v_sub_f16_e32 v65, v20, v18
	v_sub_f16_e32 v68, v18, v20
	;; [unrolled: 1-line block ×5, first 2 shown]
	v_fmac_f16_e32 v11, -0.5, v41
	v_fma_f16 v41, -0.5, v46, v27
	v_fmac_f16_e32 v27, -0.5, v54
	v_add_f16_e32 v16, v16, v18
	v_fmamk_f16 v18, v62, 0x3b9c, v44
	v_add_f16_e32 v50, v50, v57
	v_fmamk_f16 v57, v14, 0xbb9c, v51
	v_sub_f16_e32 v49, v53, v49
	v_add_f16_e32 v43, v47, v56
	v_fmamk_f16 v56, v63, 0xbb9c, v12
	v_fmac_f16_e32 v12, 0x3b9c, v63
	v_fmamk_f16 v58, v71, 0x3b9c, v45
	v_fmac_f16_e32 v45, 0xbb9c, v71
	v_sub_f16_e32 v13, v13, v19
	v_fmac_f16_e32 v44, 0xbb9c, v62
	v_fmac_f16_e32 v51, 0x3b9c, v14
	v_add_f16_e32 v46, v64, v65
	v_add_f16_e32 v52, v72, v73
	;; [unrolled: 1-line block ×4, first 2 shown]
	v_fmamk_f16 v55, v48, 0x3b9c, v27
	v_fmac_f16_e32 v27, 0xbb9c, v48
	v_fmac_f16_e32 v18, 0x38b4, v63
	;; [unrolled: 1-line block ×3, first 2 shown]
	v_add_f16_e32 v47, v67, v68
	v_add_f16_e32 v49, v49, v75
	v_fmamk_f16 v17, v37, 0x3b9c, v35
	v_fmac_f16_e32 v35, 0xbb9c, v37
	v_fmamk_f16 v53, v38, 0xbb9c, v11
	v_fmac_f16_e32 v11, 0x3b9c, v38
	v_fmac_f16_e32 v56, 0x38b4, v62
	v_fmac_f16_e32 v12, 0xb8b4, v62
	v_fmac_f16_e32 v58, 0xb8b4, v14
	v_fmac_f16_e32 v45, 0x38b4, v14
	v_fmamk_f16 v54, v13, 0xbb9c, v41
	v_fmac_f16_e32 v41, 0x3b9c, v13
	v_fmac_f16_e32 v44, 0xb8b4, v63
	v_fmac_f16_e32 v51, 0x38b4, v71
	v_add_f16_e32 v15, v15, v19
	v_add_f16_e32 v19, v40, v59
	v_fmac_f16_e32 v55, 0xb8b4, v13
	v_fmac_f16_e32 v27, 0x38b4, v13
	v_add_f16_e32 v13, v16, v20
	v_add_f16_e32 v16, v50, v61
	v_fmac_f16_e32 v18, 0x34f2, v46
	v_fmac_f16_e32 v57, 0x34f2, v52
	;; [unrolled: 1-line block ×14, first 2 shown]
	v_add_f16_e32 v14, v15, v13
	v_add_f16_e32 v20, v19, v16
	v_sub_f16_e32 v13, v15, v13
	v_sub_f16_e32 v15, v19, v16
	v_mul_f16_e32 v16, 0x38b4, v57
	v_mul_f16_e32 v38, 0xb8b4, v18
	v_fmac_f16_e32 v17, 0x34f2, v36
	v_fmac_f16_e32 v35, 0x34f2, v36
	v_fmac_f16_e32 v53, 0x34f2, v39
	v_fmac_f16_e32 v11, 0x34f2, v39
	v_mul_f16_e32 v19, 0x3b9c, v58
	v_mul_f16_e32 v36, 0x34f2, v12
	;; [unrolled: 1-line block ×4, first 2 shown]
	v_fmac_f16_e32 v54, 0x34f2, v42
	v_fmac_f16_e32 v41, 0x34f2, v42
	v_mul_f16_e32 v37, 0x3a79, v44
	v_mul_f16_e32 v42, 0x3a79, v51
	v_fmac_f16_e32 v16, 0x3a79, v18
	v_fmac_f16_e32 v38, 0x3a79, v57
	;; [unrolled: 1-line block ×4, first 2 shown]
	v_pack_b32_f16 v13, v13, v15
	v_fmac_f16_e32 v19, 0x34f2, v56
	v_fma_f16 v15, v45, 0x3b9c, -v36
	v_fmac_f16_e32 v39, 0x34f2, v58
	v_fma_f16 v12, v12, 0xbb9c, -v40
	v_pack_b32_f16 v14, v14, v20
	v_fma_f16 v18, v51, 0x38b4, -v37
	v_fma_f16 v20, v44, 0xb8b4, -v42
	v_add_f16_e32 v36, v17, v16
	v_add_f16_e32 v43, v54, v38
	;; [unrolled: 1-line block ×8, first 2 shown]
	v_sub_f16_e32 v16, v17, v16
	v_sub_f16_e32 v17, v53, v19
	;; [unrolled: 1-line block ×8, first 2 shown]
	v_pack_b32_f16 v27, v36, v43
	v_pack_b32_f16 v35, v37, v44
	;; [unrolled: 1-line block ×8, first 2 shown]
	ds_write2_b32 v33, v14, v27 offset1:13
	ds_write2_b32 v33, v35, v36 offset0:26 offset1:39
	ds_write2_b32 v33, v37, v13 offset0:52 offset1:65
	;; [unrolled: 1-line block ×4, first 2 shown]
	s_waitcnt lgkmcnt(0)
	s_barrier
	buffer_gl0_inv
	s_clause 0x4
	global_load_dword v39, v22, s[2:3] offset:468
	global_load_dword v36, v22, s[2:3] offset:572
	;; [unrolled: 1-line block ×5, first 2 shown]
	ds_read2_b32 v[49:50], v28 offset1:26
	ds_read2_b32 v[13:14], v28 offset0:104 offset1:130
	ds_read2_b32 v[11:12], v28 offset0:156 offset1:182
	;; [unrolled: 1-line block ×4, first 2 shown]
	v_lshl_add_u32 v27, v23, 2, v25
	v_add_nc_u32_e32 v40, v22, v25
	s_waitcnt lgkmcnt(4)
	v_lshrrev_b32_e32 v17, 16, v49
	s_waitcnt lgkmcnt(3)
	v_lshrrev_b32_e32 v18, 16, v14
	;; [unrolled: 2-line block ×3, first 2 shown]
	v_lshrrev_b32_e32 v20, 16, v12
	s_waitcnt lgkmcnt(0)
	v_lshrrev_b32_e32 v41, 16, v15
	v_lshrrev_b32_e32 v42, 16, v16
	;; [unrolled: 1-line block ×6, first 2 shown]
	s_waitcnt vmcnt(4)
	v_mul_f16_sdwa v43, v18, v39 dst_sel:DWORD dst_unused:UNUSED_PAD src0_sel:DWORD src1_sel:WORD_1
	v_mul_f16_sdwa v45, v14, v39 dst_sel:DWORD dst_unused:UNUSED_PAD src0_sel:DWORD src1_sel:WORD_1
	s_waitcnt vmcnt(3)
	v_mul_f16_sdwa v46, v19, v36 dst_sel:DWORD dst_unused:UNUSED_PAD src0_sel:DWORD src1_sel:WORD_1
	v_mul_f16_sdwa v55, v11, v36 dst_sel:DWORD dst_unused:UNUSED_PAD src0_sel:DWORD src1_sel:WORD_1
	;; [unrolled: 3-line block ×5, first 2 shown]
	v_fma_f16 v14, v14, v39, -v43
	v_fmac_f16_e32 v45, v18, v39
	v_fma_f16 v11, v11, v36, -v46
	v_fmac_f16_e32 v55, v19, v36
	;; [unrolled: 2-line block ×5, first 2 shown]
	v_sub_f16_e32 v12, v49, v14
	v_sub_f16_e32 v48, v17, v45
	v_sub_f16_e32 v20, v50, v11
	v_sub_f16_e32 v46, v44, v55
	v_sub_f16_e32 v18, v51, v18
	v_sub_f16_e32 v45, v47, v56
	v_sub_f16_e32 v16, v52, v15
	v_sub_f16_e32 v43, v53, v58
	v_sub_f16_e32 v14, v13, v19
	v_sub_f16_e32 v42, v54, v60
	v_fma_f16 v11, v49, 2.0, -v12
	v_fma_f16 v41, v17, 2.0, -v48
	;; [unrolled: 1-line block ×10, first 2 shown]
	v_pack_b32_f16 v52, v20, v46
	v_pack_b32_f16 v53, v18, v45
	;; [unrolled: 1-line block ×10, first 2 shown]
	ds_write2_b32 v27, v52, v53 offset0:156 offset1:182
	ds_write_b32 v27, v54 offset:832
	ds_write2_b32 v27, v56, v57 offset1:26
	ds_write2_b32 v27, v58, v59 offset0:52 offset1:78
	ds_write2_b32 v27, v60, v51 offset0:104 offset1:130
	ds_write_b32 v40, v55 offset:936
	s_waitcnt lgkmcnt(0)
	s_barrier
	buffer_gl0_inv
	s_and_saveexec_b32 s2, vcc_lo
	s_cbranch_execz .LBB0_9
; %bb.8:
	global_load_dword v63, v22, s[24:25] offset:1040
	s_add_u32 s0, s24, 0x410
	s_addc_u32 s1, s25, 0
	s_clause 0xb
	global_load_dword v64, v22, s[0:1] offset:80
	global_load_dword v65, v22, s[0:1] offset:160
	;; [unrolled: 1-line block ×12, first 2 shown]
	ds_read2_b32 v[51:52], v27 offset1:20
	ds_read2_b32 v[53:54], v27 offset0:40 offset1:60
	ds_read2_b32 v[55:56], v27 offset0:80 offset1:100
	;; [unrolled: 1-line block ×5, first 2 shown]
	ds_read_b32 v76, v27 offset:960
	s_waitcnt lgkmcnt(6)
	v_lshrrev_b32_e32 v77, 16, v51
	v_lshrrev_b32_e32 v78, 16, v52
	s_waitcnt lgkmcnt(5)
	v_lshrrev_b32_e32 v79, 16, v53
	v_lshrrev_b32_e32 v80, 16, v54
	;; [unrolled: 3-line block ×6, first 2 shown]
	s_waitcnt lgkmcnt(0)
	v_lshrrev_b32_e32 v89, 16, v76
	s_waitcnt vmcnt(11)
	v_mul_f16_sdwa v92, v78, v64 dst_sel:DWORD dst_unused:UNUSED_PAD src0_sel:DWORD src1_sel:WORD_1
	v_mul_f16_sdwa v93, v52, v64 dst_sel:DWORD dst_unused:UNUSED_PAD src0_sel:DWORD src1_sel:WORD_1
	s_waitcnt vmcnt(10)
	v_mul_f16_sdwa v94, v79, v65 dst_sel:DWORD dst_unused:UNUSED_PAD src0_sel:DWORD src1_sel:WORD_1
	v_mul_f16_sdwa v95, v53, v65 dst_sel:DWORD dst_unused:UNUSED_PAD src0_sel:DWORD src1_sel:WORD_1
	;; [unrolled: 3-line block ×4, first 2 shown]
	v_mul_f16_sdwa v91, v51, v63 dst_sel:DWORD dst_unused:UNUSED_PAD src0_sel:DWORD src1_sel:WORD_1
	v_mul_f16_sdwa v99, v55, v67 dst_sel:DWORD dst_unused:UNUSED_PAD src0_sel:DWORD src1_sel:WORD_1
	s_waitcnt vmcnt(7)
	v_mul_f16_sdwa v100, v82, v68 dst_sel:DWORD dst_unused:UNUSED_PAD src0_sel:DWORD src1_sel:WORD_1
	v_mul_f16_sdwa v101, v56, v68 dst_sel:DWORD dst_unused:UNUSED_PAD src0_sel:DWORD src1_sel:WORD_1
	s_waitcnt vmcnt(6)
	;; [unrolled: 3-line block ×8, first 2 shown]
	v_mul_f16_sdwa v114, v89, v75 dst_sel:DWORD dst_unused:UNUSED_PAD src0_sel:DWORD src1_sel:WORD_1
	v_mul_f16_sdwa v115, v76, v75 dst_sel:DWORD dst_unused:UNUSED_PAD src0_sel:DWORD src1_sel:WORD_1
	v_fma_f16 v51, v51, v63, -v90
	v_fmac_f16_e32 v91, v77, v63
	v_fma_f16 v52, v52, v64, -v92
	v_fmac_f16_e32 v93, v78, v64
	;; [unrolled: 2-line block ×13, first 2 shown]
	v_pack_b32_f16 v51, v51, v91
	v_pack_b32_f16 v52, v52, v93
	;; [unrolled: 1-line block ×13, first 2 shown]
	ds_write2_b32 v27, v51, v52 offset1:20
	ds_write2_b32 v27, v53, v54 offset0:40 offset1:60
	ds_write2_b32 v27, v55, v56 offset0:80 offset1:100
	;; [unrolled: 1-line block ×5, first 2 shown]
	ds_write_b32 v27, v63 offset:960
.LBB0_9:
	s_or_b32 exec_lo, exec_lo, s2
	s_waitcnt lgkmcnt(0)
	s_barrier
	buffer_gl0_inv
	s_and_saveexec_b32 s0, vcc_lo
	s_cbranch_execz .LBB0_11
; %bb.10:
	ds_read2_b32 v[11:12], v27 offset1:20
	ds_read2_b32 v[19:20], v27 offset0:40 offset1:60
	ds_read2_b32 v[17:18], v27 offset0:80 offset1:100
	;; [unrolled: 1-line block ×5, first 2 shown]
	ds_read_b32 v29, v27 offset:960
	s_waitcnt lgkmcnt(6)
	v_lshrrev_b32_e32 v41, 16, v11
	v_lshrrev_b32_e32 v48, 16, v12
	s_waitcnt lgkmcnt(5)
	v_lshrrev_b32_e32 v50, 16, v19
	v_lshrrev_b32_e32 v46, 16, v20
	;; [unrolled: 3-line block ×6, first 2 shown]
	s_waitcnt lgkmcnt(0)
	v_lshrrev_b32_e32 v30, 16, v29
.LBB0_11:
	s_or_b32 exec_lo, exec_lo, s0
	v_add_nc_u32_e32 v40, 0x1a0, v40
	s_barrier
	buffer_gl0_inv
	s_and_saveexec_b32 s0, vcc_lo
	s_cbranch_execz .LBB0_13
; %bb.12:
	v_sub_f16_e32 v55, v12, v29
	v_add_f16_e32 v68, v30, v48
	v_sub_f16_e32 v53, v19, v10
	v_add_f16_e32 v69, v31, v50
	v_sub_f16_e32 v51, v20, v9
	v_mul_f16_e32 v70, 0xbb7b, v55
	v_add_f16_e32 v71, v32, v46
	v_mul_f16_e32 v73, 0x394e, v53
	v_sub_f16_e32 v52, v17, v14
	v_mul_f16_e32 v75, 0x3770, v51
	v_fmamk_f16 v56, v68, 0xb5ac, v70
	v_add_f16_e32 v72, v42, v49
	v_fmamk_f16 v57, v69, 0xb9fd, v73
	v_sub_f16_e32 v54, v18, v13
	v_sub_f16_e32 v76, v48, v30
	v_add_f16_e32 v56, v41, v56
	v_mul_f16_e32 v77, 0xbbf1, v52
	v_fmamk_f16 v59, v71, 0x3b15, v75
	v_add_f16_e32 v74, v44, v45
	v_add_f16_e32 v58, v29, v12
	v_add_f16_e32 v56, v57, v56
	v_sub_f16_e32 v78, v50, v31
	v_mul_f16_e32 v79, 0x33a8, v54
	v_mul_f16_e32 v80, 0xbb7b, v76
	v_fmamk_f16 v57, v72, 0x2fb7, v77
	v_add_f16_e32 v56, v59, v56
	v_add_f16_e32 v59, v10, v19
	v_mul_f16_e32 v81, 0x394e, v78
	v_fmamk_f16 v60, v74, 0xbbc4, v79
	v_fma_f16 v61, v58, 0xb5ac, -v80
	v_add_f16_e32 v57, v57, v56
	v_sub_f16_e32 v82, v46, v32
	v_sub_f16_e32 v56, v15, v16
	v_fma_f16 v62, v59, 0xb9fd, -v81
	v_add_f16_e32 v61, v11, v61
	v_add_f16_e32 v57, v60, v57
	;; [unrolled: 1-line block ×3, first 2 shown]
	v_mul_f16_e32 v83, 0x3770, v82
	v_sub_f16_e32 v85, v49, v42
	v_mul_f16_e32 v84, 0x3a95, v56
	v_add_f16_e32 v86, v43, v47
	v_add_f16_e32 v62, v62, v61
	v_fma_f16 v63, v60, 0x3b15, -v83
	v_add_f16_e32 v61, v14, v17
	v_mul_f16_e32 v87, 0xbbf1, v85
	v_fmamk_f16 v64, v86, 0x388b, v84
	v_sub_f16_e32 v88, v45, v44
	v_add_f16_e32 v62, v63, v62
	v_mul_f16_e32 v89, 0xb94e, v55
	v_fma_f16 v65, v61, 0x2fb7, -v87
	v_add_f16_e32 v57, v64, v57
	v_add_f16_e32 v63, v13, v18
	v_mul_f16_e32 v90, 0x33a8, v88
	v_sub_f16_e32 v91, v47, v43
	v_add_f16_e32 v64, v65, v62
	v_fmamk_f16 v65, v68, 0xb9fd, v89
	v_mul_f16_e32 v92, 0x3bf1, v53
	v_fma_f16 v66, v63, 0xbbc4, -v90
	v_add_f16_e32 v62, v16, v15
	v_mul_f16_e32 v93, 0x3a95, v91
	v_add_f16_e32 v65, v41, v65
	v_fmamk_f16 v67, v69, 0x2fb7, v92
	v_mul_f16_e32 v94, 0xba95, v51
	v_add_f16_e32 v64, v66, v64
	v_fma_f16 v66, v62, 0x388b, -v93
	v_mul_f16_e32 v95, 0xb94e, v76
	v_add_f16_e32 v65, v67, v65
	v_fmamk_f16 v67, v71, 0x388b, v94
	v_mul_f16_e32 v96, 0x33a8, v52
	v_add_f16_e32 v64, v66, v64
	v_fma_f16 v66, v58, 0xb9fd, -v95
	;; [unrolled: 6-line block ×9, first 2 shown]
	v_mul_f16_e32 v114, 0xb94e, v82
	v_add_f16_e32 v67, v107, v67
	v_fmamk_f16 v107, v74, 0xb5ac, v112
	v_mul_f16_e32 v115, 0x3bf1, v56
	v_fma_f16 v70, v68, 0xb5ac, -v70
	v_add_f16_e32 v99, v113, v99
	v_fma_f16 v113, v60, 0xb9fd, -v114
	v_mul_f16_e32 v116, 0x3a95, v85
	v_fma_f16 v103, v68, 0xbbc4, -v103
	v_add_f16_e32 v67, v107, v67
	v_fmamk_f16 v107, v86, 0x2fb7, v115
	v_add_f16_e32 v70, v41, v70
	v_fma_f16 v73, v69, 0xb9fd, -v73
	v_add_f16_e32 v99, v113, v99
	v_fma_f16 v113, v61, 0x388b, -v116
	;; [unrolled: 2-line block ×3, first 2 shown]
	v_add_f16_e32 v67, v107, v67
	v_mul_f16_e32 v107, 0xbb7b, v88
	v_fmac_f16_e32 v109, 0xbbc4, v58
	v_add_f16_e32 v70, v73, v70
	v_fma_f16 v73, v71, 0x3b15, -v75
	v_fmac_f16_e32 v80, 0xb5ac, v58
	v_add_f16_e32 v99, v113, v99
	v_add_f16_e32 v103, v105, v103
	v_fma_f16 v105, v71, 0xb9fd, -v108
	v_fma_f16 v108, v63, 0xb5ac, -v107
	v_mul_f16_e32 v113, 0x3bf1, v91
	v_add_f16_e32 v109, v11, v109
	v_fmac_f16_e32 v111, 0x3b15, v59
	v_add_f16_e32 v70, v73, v70
	v_fma_f16 v73, v72, 0x2fb7, -v77
	v_add_f16_e32 v77, v11, v80
	v_fmac_f16_e32 v81, 0xb9fd, v59
	v_add_f16_e32 v12, v12, v11
	v_fma_f16 v89, v68, 0xb9fd, -v89
	v_add_f16_e32 v99, v108, v99
	v_fma_f16 v108, v62, 0x2fb7, -v113
	v_add_f16_e32 v109, v111, v109
	v_fmac_f16_e32 v114, 0xb9fd, v60
	v_add_f16_e32 v77, v81, v77
	v_fmac_f16_e32 v83, 0x3b15, v60
	v_add_f16_e32 v12, v19, v12
	v_add_f16_e32 v89, v41, v89
	v_fma_f16 v92, v69, 0x2fb7, -v92
	v_add_f16_e32 v70, v73, v70
	v_fma_f16 v73, v74, 0xbbc4, -v79
	v_mul_f16_e32 v79, 0x2fb7, v68
	v_add_f16_e32 v99, v108, v99
	v_add_f16_e32 v108, v114, v109
	v_fmac_f16_e32 v116, 0x388b, v61
	v_add_f16_e32 v77, v83, v77
	v_fmac_f16_e32 v87, 0x2fb7, v61
	;; [unrolled: 2-line block ×3, first 2 shown]
	v_add_f16_e32 v89, v92, v89
	v_fma_f16 v92, v71, 0x388b, -v94
	v_add_f16_e32 v70, v73, v70
	v_fmamk_f16 v73, v55, 0x3bf1, v79
	v_mul_f16_e32 v80, 0xbbc4, v69
	v_add_f16_e32 v108, v116, v108
	v_fmac_f16_e32 v107, 0xb5ac, v63
	v_add_f16_e32 v77, v87, v77
	v_fmac_f16_e32 v90, 0xbbc4, v63
	v_add_f16_e32 v12, v17, v12
	v_add_f16_e32 v95, v11, v95
	v_fmac_f16_e32 v97, 0x2fb7, v59
	v_add_f16_e32 v89, v92, v89
	v_fma_f16 v92, v72, 0xbbc4, -v96
	v_fma_f16 v81, v86, 0x388b, -v84
	v_add_f16_e32 v73, v41, v73
	v_fmamk_f16 v83, v53, 0x33a8, v80
	v_mul_f16_e32 v84, 0xb5ac, v71
	v_add_f16_e32 v94, v107, v108
	v_add_f16_e32 v77, v90, v77
	v_fmac_f16_e32 v93, 0x388b, v62
	v_mul_f16_e32 v87, 0xbbf1, v76
	v_mul_f16_e32 v108, 0xba95, v76
	;; [unrolled: 1-line block ×3, first 2 shown]
	v_add_f16_e32 v20, v48, v41
	v_add_f16_e32 v12, v18, v12
	;; [unrolled: 1-line block ×3, first 2 shown]
	v_fmac_f16_e32 v100, 0x388b, v60
	v_add_f16_e32 v89, v92, v89
	v_fma_f16 v92, v74, 0x3b15, -v98
	v_add_f16_e32 v70, v81, v70
	v_add_f16_e32 v73, v83, v73
	v_fmamk_f16 v81, v51, 0xbb7b, v84
	v_mul_f16_e32 v83, 0x3b15, v72
	v_add_f16_e32 v103, v105, v103
	v_fma_f16 v105, v72, 0x388b, -v110
	v_add_f16_e32 v77, v93, v77
	v_mul_f16_e32 v93, 0xb3a8, v78
	v_mul_f16_e32 v110, 0xbb7b, v78
	v_fmamk_f16 v48, v58, 0x3b15, v76
	v_mul_f16_e32 v78, 0xba95, v78
	v_add_f16_e32 v17, v50, v20
	v_add_f16_e32 v12, v15, v12
	;; [unrolled: 1-line block ×3, first 2 shown]
	v_fmac_f16_e32 v102, 0xbbc4, v61
	v_add_f16_e32 v89, v92, v89
	v_fma_f16 v92, v86, 0xb5ac, -v101
	v_add_f16_e32 v73, v81, v73
	v_fmamk_f16 v81, v52, 0xb770, v83
	v_mul_f16_e32 v90, 0x388b, v74
	v_add_f16_e32 v20, v11, v48
	v_fmamk_f16 v48, v59, 0x388b, v78
	v_mul_f16_e32 v50, 0xbbf1, v82
	v_add_f16_e32 v17, v46, v17
	v_add_f16_e32 v12, v16, v12
	;; [unrolled: 1-line block ×4, first 2 shown]
	v_fmamk_f16 v92, v58, 0x2fb7, v87
	v_add_f16_e32 v73, v81, v73
	v_fmamk_f16 v81, v54, 0x3a95, v90
	v_mul_f16_e32 v95, 0xb9fd, v86
	v_add_f16_e32 v20, v48, v20
	v_fmamk_f16 v46, v60, 0x2fb7, v50
	v_add_f16_e32 v15, v49, v17
	v_mul_f16_e32 v17, 0xbb7b, v85
	v_add_f16_e32 v12, v13, v12
	v_add_f16_e32 v103, v105, v103
	v_fma_f16 v105, v74, 0xb5ac, -v112
	v_add_f16_e32 v92, v11, v92
	v_fmamk_f16 v96, v59, 0xbbc4, v93
	v_mul_f16_e32 v97, 0x3b7b, v82
	v_add_f16_e32 v73, v81, v73
	v_fmamk_f16 v81, v56, 0x394e, v95
	v_mul_f16_e32 v98, 0x388b, v68
	v_add_f16_e32 v20, v46, v20
	v_add_f16_e32 v15, v45, v15
	v_fmamk_f16 v16, v61, 0xb5ac, v17
	v_mul_f16_e32 v45, 0xb94e, v88
	v_add_f16_e32 v12, v14, v12
	v_add_f16_e32 v103, v105, v103
	v_fma_f16 v105, v86, 0x2fb7, -v115
	v_fmac_f16_e32 v104, 0x3b15, v63
	v_add_f16_e32 v92, v96, v92
	v_fmamk_f16 v96, v60, 0xb5ac, v97
	v_mul_f16_e32 v100, 0x3770, v85
	v_add_f16_e32 v73, v81, v73
	v_fmamk_f16 v81, v55, 0x3a95, v98
	v_mul_f16_e32 v101, 0xb5ac, v69
	v_add_f16_e32 v13, v47, v15
	v_add_f16_e32 v15, v16, v20
	v_fmamk_f16 v16, v63, 0xb9fd, v45
	v_mul_f16_e32 v20, 0xb3a8, v91
	v_add_f16_e32 v9, v9, v12
	v_add_f16_e32 v103, v105, v103
	;; [unrolled: 1-line block ×3, first 2 shown]
	v_fmac_f16_e32 v106, 0xb5ac, v62
	v_add_f16_e32 v92, v96, v92
	v_fmamk_f16 v96, v61, 0x3b15, v100
	v_mul_f16_e32 v102, 0xba95, v88
	v_add_f16_e32 v81, v41, v81
	v_fmamk_f16 v104, v53, 0x3b7b, v101
	v_mul_f16_e32 v105, 0xbbc4, v71
	v_add_f16_e32 v14, v16, v15
	v_fmamk_f16 v15, v62, 0xbbc4, v20
	v_add_f16_e32 v9, v10, v9
	v_fma_f16 v10, v58, 0x2fb7, -v87
	v_add_f16_e32 v75, v106, v75
	v_add_f16_e32 v92, v96, v92
	v_fmamk_f16 v96, v63, 0x388b, v102
	v_mul_f16_e32 v106, 0xb94e, v91
	v_add_f16_e32 v81, v104, v81
	v_fmamk_f16 v104, v51, 0x33a8, v105
	v_mul_f16_e32 v107, 0xb9fd, v72
	v_add_f16_e32 v13, v43, v13
	v_add_f16_e32 v14, v15, v14
	;; [unrolled: 1-line block ×3, first 2 shown]
	v_fma_f16 v15, v59, 0xbbc4, -v93
	v_add_f16_e32 v92, v96, v92
	v_fmamk_f16 v96, v62, 0xb9fd, v106
	v_add_f16_e32 v81, v104, v81
	v_fmamk_f16 v104, v52, 0xb94e, v107
	v_mul_f16_e32 v109, 0x2fb7, v74
	v_add_f16_e32 v12, v44, v13
	v_add_f16_e32 v10, v15, v10
	v_fma_f16 v15, v60, 0xb5ac, -v97
	v_fmac_f16_e32 v113, 0x2fb7, v62
	v_add_f16_e32 v92, v96, v92
	v_fmamk_f16 v96, v58, 0x388b, v108
	v_add_f16_e32 v81, v104, v81
	v_fmamk_f16 v104, v54, 0xbbf1, v109
	v_mul_f16_e32 v111, 0x3b15, v86
	v_add_f16_e32 v12, v42, v12
	v_add_f16_e32 v10, v15, v10
	v_fma_f16 v15, v61, 0x3b15, -v100
	v_add_f16_e32 v94, v113, v94
	v_add_f16_e32 v96, v11, v96
	v_fmamk_f16 v112, v59, 0xb5ac, v110
	v_mul_f16_e32 v113, 0xb3a8, v82
	v_add_f16_e32 v81, v104, v81
	v_fmamk_f16 v104, v56, 0xb770, v111
	v_mul_f16_e32 v68, 0x3b15, v68
	v_add_f16_e32 v12, v32, v12
	v_add_f16_e32 v10, v15, v10
	v_fma_f16 v15, v63, 0x388b, -v102
	v_add_f16_e32 v96, v112, v96
	v_fmamk_f16 v112, v60, 0xbbc4, v113
	v_mul_f16_e32 v114, 0x394e, v85
	v_add_f16_e32 v81, v104, v81
	v_fmamk_f16 v104, v55, 0x3770, v68
	v_mul_f16_e32 v69, 0x388b, v69
	v_add_f16_e32 v9, v29, v9
	v_add_f16_e32 v12, v31, v12
	;; [unrolled: 1-line block ×3, first 2 shown]
	v_fma_f16 v15, v62, 0xb9fd, -v106
	v_fma_f16 v29, v58, 0x388b, -v108
	v_add_f16_e32 v96, v112, v96
	v_fmamk_f16 v112, v61, 0xb9fd, v114
	v_mul_f16_e32 v115, 0x3bf1, v88
	v_add_f16_e32 v104, v41, v104
	v_fmamk_f16 v116, v53, 0x3a95, v69
	v_mul_f16_e32 v71, 0x2fb7, v71
	v_fmac_f16_e32 v79, 0xbbf1, v55
	v_fmac_f16_e32 v98, 0xba95, v55
	v_add_f16_e32 v12, v30, v12
	v_add_f16_e32 v10, v15, v10
	;; [unrolled: 1-line block ×3, first 2 shown]
	v_fma_f16 v29, v59, 0xb5ac, -v110
	v_fmac_f16_e32 v68, 0xb770, v55
	v_fma_f16 v30, v58, 0x3b15, -v76
	v_add_f16_e32 v96, v112, v96
	v_fmamk_f16 v112, v63, 0x2fb7, v115
	v_mul_f16_e32 v117, 0x3770, v91
	v_add_f16_e32 v104, v116, v104
	v_fmamk_f16 v116, v51, 0x3bf1, v71
	v_mul_f16_e32 v72, 0xb5ac, v72
	v_add_f16_e32 v13, v41, v79
	v_fmac_f16_e32 v80, 0xb3a8, v53
	v_add_f16_e32 v16, v41, v98
	v_fmac_f16_e32 v101, 0xbb7b, v53
	v_add_f16_e32 v15, v29, v15
	v_fma_f16 v29, v60, 0xbbc4, -v113
	v_add_f16_e32 v31, v41, v68
	v_fmac_f16_e32 v69, 0xba95, v53
	v_add_f16_e32 v11, v11, v30
	v_fma_f16 v30, v59, 0x388b, -v78
	v_add_f16_e32 v96, v112, v96
	v_fmamk_f16 v112, v62, 0x3b15, v117
	v_add_f16_e32 v104, v116, v104
	v_fmamk_f16 v116, v52, 0x3b7b, v72
	v_mul_f16_e32 v74, 0xb9fd, v74
	v_add_f16_e32 v13, v80, v13
	v_fmac_f16_e32 v84, 0x3b7b, v51
	v_add_f16_e32 v16, v101, v16
	v_fmac_f16_e32 v105, 0xb3a8, v51
	v_add_f16_e32 v15, v29, v15
	v_fma_f16 v29, v61, 0xb9fd, -v114
	v_add_f16_e32 v31, v69, v31
	v_fmac_f16_e32 v71, 0xbbf1, v51
	v_add_f16_e32 v11, v30, v11
	v_fma_f16 v30, v60, 0x2fb7, -v50
	v_add_f16_e32 v19, v112, v96
	v_add_f16_e32 v96, v116, v104
	v_fmamk_f16 v104, v54, 0x394e, v74
	v_mul_f16_e32 v18, 0xbbc4, v86
	v_add_f16_e32 v13, v84, v13
	v_fmac_f16_e32 v83, 0x3770, v52
	v_add_f16_e32 v16, v105, v16
	v_fmac_f16_e32 v107, 0x394e, v52
	v_add_f16_e32 v15, v29, v15
	v_fma_f16 v29, v63, 0x2fb7, -v115
	v_add_f16_e32 v31, v71, v31
	v_fmac_f16_e32 v72, 0xbb7b, v52
	v_add_f16_e32 v11, v30, v11
	v_fma_f16 v17, v61, 0xb5ac, -v17
	v_add_f16_e32 v96, v104, v96
	v_fmamk_f16 v48, v56, 0x33a8, v18
	v_add_f16_e32 v13, v83, v13
	v_fmac_f16_e32 v90, 0xba95, v54
	v_add_f16_e32 v16, v107, v16
	v_fmac_f16_e32 v109, 0x3bf1, v54
	v_add_f16_e32 v15, v29, v15
	v_add_f16_e32 v29, v72, v31
	v_fmac_f16_e32 v74, 0xb94e, v54
	v_add_f16_e32 v11, v17, v11
	v_fma_f16 v17, v63, 0xb9fd, -v45
	v_add_f16_e32 v46, v48, v96
	v_and_b32_e32 v26, 0xffff, v26
	v_add_f16_e32 v13, v90, v13
	v_fmac_f16_e32 v95, 0xb94e, v56
	v_add_f16_e32 v16, v109, v16
	v_fmac_f16_e32 v111, 0x3770, v56
	v_fma_f16 v30, v62, 0x3b15, -v117
	v_add_f16_e32 v29, v74, v29
	v_fmac_f16_e32 v18, 0xb3a8, v56
	v_add_f16_e32 v11, v17, v11
	v_fma_f16 v17, v62, 0xbbc4, -v20
	v_lshl_add_u32 v20, v26, 2, v25
	v_pack_b32_f16 v14, v14, v46
	v_pack_b32_f16 v9, v9, v12
	v_pack_b32_f16 v12, v92, v73
	v_pack_b32_f16 v19, v19, v81
	v_add_f16_e32 v13, v95, v13
	v_add_f16_e32 v16, v111, v16
	;; [unrolled: 1-line block ×5, first 2 shown]
	ds_write2_b32 v20, v9, v14 offset1:1
	ds_write2_b32 v20, v19, v12 offset0:2 offset1:3
	v_pack_b32_f16 v9, v75, v89
	v_pack_b32_f16 v12, v77, v70
	;; [unrolled: 1-line block ×9, first 2 shown]
	ds_write2_b32 v20, v12, v9 offset0:4 offset1:5
	ds_write2_b32 v20, v17, v14 offset0:6 offset1:7
	;; [unrolled: 1-line block ×4, first 2 shown]
	ds_write_b32 v20, v11 offset:48
.LBB0_13:
	s_or_b32 exec_lo, exec_lo, s0
	s_waitcnt lgkmcnt(0)
	s_barrier
	buffer_gl0_inv
	ds_read2_b32 v[9:10], v28 offset1:26
	ds_read2_b32 v[11:12], v28 offset0:52 offset1:78
	ds_read2_b32 v[13:14], v28 offset0:104 offset1:130
	;; [unrolled: 1-line block ×4, first 2 shown]
	s_waitcnt lgkmcnt(0)
	s_barrier
	buffer_gl0_inv
	v_lshrrev_b32_e32 v20, 16, v10
	v_lshrrev_b32_e32 v25, 16, v11
	;; [unrolled: 1-line block ×4, first 2 shown]
	v_mul_f16_sdwa v43, v4, v10 dst_sel:DWORD dst_unused:UNUSED_PAD src0_sel:WORD_1 src1_sel:DWORD
	v_mul_f16_sdwa v44, v5, v11 dst_sel:DWORD dst_unused:UNUSED_PAD src0_sel:WORD_1 src1_sel:DWORD
	v_lshrrev_b32_e32 v30, 16, v14
	v_lshrrev_b32_e32 v31, 16, v15
	v_mul_f16_sdwa v45, v6, v12 dst_sel:DWORD dst_unused:UNUSED_PAD src0_sel:WORD_1 src1_sel:DWORD
	v_mul_f16_sdwa v46, v7, v13 dst_sel:DWORD dst_unused:UNUSED_PAD src0_sel:WORD_1 src1_sel:DWORD
	;; [unrolled: 1-line block ×3, first 2 shown]
	v_fma_f16 v20, v4, v20, -v43
	v_mul_f16_sdwa v43, v5, v25 dst_sel:DWORD dst_unused:UNUSED_PAD src0_sel:WORD_1 src1_sel:DWORD
	v_mul_f16_sdwa v48, v6, v26 dst_sel:DWORD dst_unused:UNUSED_PAD src0_sel:WORD_1 src1_sel:DWORD
	v_fma_f16 v25, v5, v25, -v44
	v_mul_f16_sdwa v44, v7, v29 dst_sel:DWORD dst_unused:UNUSED_PAD src0_sel:WORD_1 src1_sel:DWORD
	v_lshrrev_b32_e32 v41, 16, v17
	v_fmac_f16_e32 v47, v4, v10
	v_fmac_f16_e32 v43, v5, v11
	;; [unrolled: 1-line block ×3, first 2 shown]
	v_fma_f16 v4, v6, v26, -v45
	v_mul_f16_sdwa v5, v0, v30 dst_sel:DWORD dst_unused:UNUSED_PAD src0_sel:WORD_1 src1_sel:DWORD
	v_fmac_f16_e32 v44, v7, v13
	v_fma_f16 v6, v7, v29, -v46
	v_mul_f16_sdwa v7, v0, v14 dst_sel:DWORD dst_unused:UNUSED_PAD src0_sel:WORD_1 src1_sel:DWORD
	v_mul_f16_sdwa v10, v1, v31 dst_sel:DWORD dst_unused:UNUSED_PAD src0_sel:WORD_1 src1_sel:DWORD
	v_lshrrev_b32_e32 v32, 16, v16
	v_fmac_f16_e32 v5, v0, v14
	v_mul_f16_sdwa v14, v3, v41 dst_sel:DWORD dst_unused:UNUSED_PAD src0_sel:WORD_1 src1_sel:DWORD
	v_fma_f16 v0, v0, v30, -v7
	v_fmac_f16_e32 v10, v1, v15
	v_mul_f16_sdwa v7, v3, v17 dst_sel:DWORD dst_unused:UNUSED_PAD src0_sel:WORD_1 src1_sel:DWORD
	v_mul_f16_sdwa v11, v1, v15 dst_sel:DWORD dst_unused:UNUSED_PAD src0_sel:WORD_1 src1_sel:DWORD
	;; [unrolled: 1-line block ×3, first 2 shown]
	v_fmac_f16_e32 v14, v3, v17
	v_add_f16_e32 v13, v44, v10
	v_fma_f16 v7, v3, v41, -v7
	v_lshrrev_b32_e32 v19, 16, v9
	v_lshrrev_b32_e32 v42, 16, v18
	v_fma_f16 v1, v1, v31, -v11
	v_fmac_f16_e32 v12, v2, v16
	v_mul_f16_sdwa v11, v2, v16 dst_sel:DWORD dst_unused:UNUSED_PAD src0_sel:WORD_1 src1_sel:DWORD
	v_add_f16_e32 v16, v9, v43
	v_fma_f16 v13, -0.5, v13, v9
	v_sub_f16_e32 v26, v25, v7
	v_add_f16_e32 v30, v43, v14
	v_mul_f16_sdwa v15, v34, v42 dst_sel:DWORD dst_unused:UNUSED_PAD src0_sel:WORD_1 src1_sel:DWORD
	v_fma_f16 v2, v2, v32, -v11
	v_add_f16_e32 v3, v16, v44
	v_fmamk_f16 v11, v26, 0xbb9c, v13
	v_sub_f16_e32 v16, v6, v1
	v_sub_f16_e32 v17, v43, v44
	;; [unrolled: 1-line block ×3, first 2 shown]
	v_fmac_f16_e32 v9, -0.5, v30
	v_fmac_f16_e32 v13, 0x3b9c, v26
	v_add_f16_e32 v32, v19, v25
	v_fmac_f16_e32 v15, v34, v18
	v_mul_f16_sdwa v18, v34, v18 dst_sel:DWORD dst_unused:UNUSED_PAD src0_sel:WORD_1 src1_sel:DWORD
	v_fmac_f16_e32 v11, 0xb8b4, v16
	v_add_f16_e32 v17, v17, v29
	v_fmamk_f16 v29, v16, 0x3b9c, v9
	v_fmac_f16_e32 v13, 0x38b4, v16
	v_fmac_f16_e32 v9, 0xbb9c, v16
	v_add_f16_e32 v16, v32, v6
	v_add_f16_e32 v3, v3, v10
	v_fma_f16 v18, v34, v42, -v18
	v_sub_f16_e32 v30, v44, v43
	v_sub_f16_e32 v31, v10, v14
	v_add_f16_e32 v34, v6, v1
	v_fmac_f16_e32 v29, 0xb8b4, v26
	v_fmac_f16_e32 v9, 0x38b4, v26
	v_add_f16_e32 v16, v16, v1
	v_add_f16_e32 v26, v25, v7
	;; [unrolled: 1-line block ×4, first 2 shown]
	v_fma_f16 v31, -0.5, v34, v19
	v_sub_f16_e32 v14, v43, v14
	v_sub_f16_e32 v10, v44, v10
	;; [unrolled: 1-line block ×4, first 2 shown]
	v_fmac_f16_e32 v19, -0.5, v26
	v_add_f16_e32 v16, v16, v7
	v_sub_f16_e32 v6, v6, v25
	v_sub_f16_e32 v1, v1, v7
	v_add_f16_e32 v7, v47, v48
	v_fmac_f16_e32 v11, 0x34f2, v17
	v_fmac_f16_e32 v13, 0x34f2, v17
	;; [unrolled: 1-line block ×3, first 2 shown]
	v_fmamk_f16 v17, v14, 0x3b9c, v31
	v_fmac_f16_e32 v9, 0x34f2, v30
	v_fmac_f16_e32 v31, 0xbb9c, v14
	v_fmamk_f16 v30, v10, 0xbb9c, v19
	v_add_f16_e32 v1, v6, v1
	v_fmac_f16_e32 v19, 0x3b9c, v10
	v_add_f16_e32 v6, v7, v5
	v_add_f16_e32 v7, v5, v12
	v_fmac_f16_e32 v17, 0x38b4, v10
	v_fmac_f16_e32 v31, 0xb8b4, v10
	;; [unrolled: 1-line block ×4, first 2 shown]
	v_add_f16_e32 v6, v6, v12
	v_add_f16_e32 v10, v48, v15
	v_fma_f16 v7, -0.5, v7, v47
	v_sub_f16_e32 v14, v4, v18
	v_add_f16_e32 v26, v32, v34
	v_fmac_f16_e32 v30, 0x34f2, v1
	v_fmac_f16_e32 v19, 0x34f2, v1
	v_add_f16_e32 v1, v6, v15
	v_sub_f16_e32 v6, v0, v2
	v_fmac_f16_e32 v47, -0.5, v10
	v_fmamk_f16 v10, v14, 0xbb9c, v7
	v_fmac_f16_e32 v7, 0x3b9c, v14
	v_fmac_f16_e32 v17, 0x34f2, v26
	;; [unrolled: 1-line block ×3, first 2 shown]
	v_sub_f16_e32 v25, v48, v5
	v_sub_f16_e32 v26, v15, v12
	v_fmamk_f16 v32, v6, 0x3b9c, v47
	v_fmac_f16_e32 v47, 0xbb9c, v6
	v_sub_f16_e32 v34, v5, v48
	v_sub_f16_e32 v41, v12, v15
	v_fmac_f16_e32 v10, 0xb8b4, v6
	v_fmac_f16_e32 v7, 0x38b4, v6
	v_add_f16_e32 v6, v0, v2
	v_add_f16_e32 v25, v25, v26
	v_fmac_f16_e32 v32, 0xb8b4, v14
	v_fmac_f16_e32 v47, 0x38b4, v14
	v_add_f16_e32 v14, v4, v18
	v_add_f16_e32 v26, v34, v41
	v_fma_f16 v6, -0.5, v6, v20
	v_sub_f16_e32 v15, v48, v15
	v_fmac_f16_e32 v10, 0x34f2, v25
	v_fmac_f16_e32 v7, 0x34f2, v25
	v_add_f16_e32 v25, v20, v4
	v_sub_f16_e32 v5, v5, v12
	v_fmac_f16_e32 v20, -0.5, v14
	v_fmac_f16_e32 v32, 0x34f2, v26
	v_fmac_f16_e32 v47, 0x34f2, v26
	v_fmamk_f16 v12, v15, 0x3b9c, v6
	v_sub_f16_e32 v14, v4, v0
	v_sub_f16_e32 v26, v18, v2
	v_fmamk_f16 v34, v5, 0xbb9c, v20
	v_sub_f16_e32 v4, v0, v4
	v_sub_f16_e32 v41, v2, v18
	v_fmac_f16_e32 v20, 0x3b9c, v5
	v_fmac_f16_e32 v6, 0xbb9c, v15
	v_fmac_f16_e32 v12, 0x38b4, v5
	v_add_f16_e32 v14, v14, v26
	v_fmac_f16_e32 v34, 0x38b4, v15
	v_add_f16_e32 v4, v4, v41
	v_fmac_f16_e32 v20, 0xb8b4, v15
	v_fmac_f16_e32 v6, 0xb8b4, v5
	v_add_f16_e32 v0, v25, v0
	v_fmac_f16_e32 v12, 0x34f2, v14
	v_fmac_f16_e32 v34, 0x34f2, v4
	;; [unrolled: 1-line block ×4, first 2 shown]
	v_add_f16_e32 v0, v0, v2
	v_mul_f16_e32 v2, 0xb8b4, v12
	v_mul_f16_e32 v12, 0x3a79, v12
	;; [unrolled: 1-line block ×8, first 2 shown]
	v_add_f16_e32 v0, v0, v18
	v_fmac_f16_e32 v2, 0x3a79, v10
	v_fmac_f16_e32 v12, 0x38b4, v10
	;; [unrolled: 1-line block ×8, first 2 shown]
	v_add_f16_e32 v15, v3, v1
	v_add_f16_e32 v18, v11, v2
	;; [unrolled: 1-line block ×10, first 2 shown]
	v_sub_f16_e32 v1, v3, v1
	v_sub_f16_e32 v0, v16, v0
	;; [unrolled: 1-line block ×10, first 2 shown]
	v_pack_b32_f16 v7, v15, v7
	v_pack_b32_f16 v10, v18, v10
	;; [unrolled: 1-line block ×10, first 2 shown]
	ds_write2_b32 v33, v7, v10 offset1:13
	ds_write2_b32 v33, v13, v14 offset0:26 offset1:39
	ds_write2_b32 v33, v15, v0 offset0:52 offset1:65
	;; [unrolled: 1-line block ×4, first 2 shown]
	s_waitcnt lgkmcnt(0)
	s_barrier
	buffer_gl0_inv
	ds_read2_b32 v[0:1], v28 offset1:26
	ds_read2_b32 v[2:3], v28 offset0:104 offset1:130
	ds_read2_b32 v[4:5], v28 offset0:156 offset1:182
	;; [unrolled: 1-line block ×4, first 2 shown]
	s_waitcnt lgkmcnt(4)
	v_lshrrev_b32_e32 v11, 16, v0
	s_waitcnt lgkmcnt(3)
	v_lshrrev_b32_e32 v12, 16, v3
	s_waitcnt lgkmcnt(2)
	v_lshrrev_b32_e32 v14, 16, v4
	v_mul_f16_sdwa v20, v39, v3 dst_sel:DWORD dst_unused:UNUSED_PAD src0_sel:WORD_1 src1_sel:DWORD
	v_lshrrev_b32_e32 v16, 16, v5
	s_waitcnt lgkmcnt(0)
	v_lshrrev_b32_e32 v19, 16, v9
	v_mul_f16_sdwa v18, v39, v12 dst_sel:DWORD dst_unused:UNUSED_PAD src0_sel:WORD_1 src1_sel:DWORD
	v_mul_f16_sdwa v29, v38, v5 dst_sel:DWORD dst_unused:UNUSED_PAD src0_sel:WORD_1 src1_sel:DWORD
	v_fma_f16 v12, v39, v12, -v20
	v_mul_f16_sdwa v20, v36, v4 dst_sel:DWORD dst_unused:UNUSED_PAD src0_sel:WORD_1 src1_sel:DWORD
	v_mul_f16_sdwa v28, v38, v16 dst_sel:DWORD dst_unused:UNUSED_PAD src0_sel:WORD_1 src1_sel:DWORD
	v_fmac_f16_e32 v18, v39, v3
	v_mul_f16_sdwa v3, v36, v14 dst_sel:DWORD dst_unused:UNUSED_PAD src0_sel:WORD_1 src1_sel:DWORD
	v_lshrrev_b32_e32 v26, 16, v10
	v_lshrrev_b32_e32 v13, 16, v1
	v_fma_f16 v14, v36, v14, -v20
	v_fmac_f16_e32 v28, v38, v5
	v_fmac_f16_e32 v3, v36, v4
	v_mul_f16_sdwa v4, v35, v19 dst_sel:DWORD dst_unused:UNUSED_PAD src0_sel:WORD_1 src1_sel:DWORD
	v_fma_f16 v5, v38, v16, -v29
	v_mul_f16_sdwa v16, v35, v9 dst_sel:DWORD dst_unused:UNUSED_PAD src0_sel:WORD_1 src1_sel:DWORD
	v_mul_f16_sdwa v20, v37, v10 dst_sel:DWORD dst_unused:UNUSED_PAD src0_sel:WORD_1 src1_sel:DWORD
	v_sub_f16_e32 v18, v0, v18
	v_fmac_f16_e32 v4, v35, v9
	v_mul_f16_sdwa v9, v37, v26 dst_sel:DWORD dst_unused:UNUSED_PAD src0_sel:WORD_1 src1_sel:DWORD
	v_sub_f16_e32 v12, v11, v12
	v_sub_f16_e32 v3, v1, v3
	;; [unrolled: 1-line block ×3, first 2 shown]
	v_lshrrev_b32_e32 v15, 16, v6
	v_lshrrev_b32_e32 v17, 16, v7
	v_fma_f16 v16, v35, v19, -v16
	v_lshrrev_b32_e32 v25, 16, v2
	v_fmac_f16_e32 v9, v37, v10
	v_fma_f16 v10, v37, v26, -v20
	v_fma_f16 v0, v0, 2.0, -v18
	v_fma_f16 v11, v11, 2.0, -v12
	v_fma_f16 v1, v1, 2.0, -v3
	v_fma_f16 v13, v13, 2.0, -v14
	v_sub_f16_e32 v19, v6, v28
	v_sub_f16_e32 v5, v15, v5
	;; [unrolled: 1-line block ×6, first 2 shown]
	v_pack_b32_f16 v0, v0, v11
	v_pack_b32_f16 v1, v1, v13
	v_fma_f16 v6, v6, 2.0, -v19
	v_fma_f16 v15, v15, 2.0, -v5
	;; [unrolled: 1-line block ×6, first 2 shown]
	ds_write2_b32 v27, v0, v1 offset1:26
	v_pack_b32_f16 v0, v3, v14
	v_pack_b32_f16 v3, v19, v5
	;; [unrolled: 1-line block ×8, first 2 shown]
	ds_write2_b32 v27, v0, v3 offset0:156 offset1:182
	ds_write2_b32 v27, v1, v5 offset0:52 offset1:78
	ds_write_b32 v27, v4 offset:832
	ds_write2_b32 v27, v2, v12 offset0:104 offset1:130
	ds_write_b32 v40, v6 offset:520
	s_waitcnt lgkmcnt(0)
	s_barrier
	buffer_gl0_inv
	s_and_b32 exec_lo, exec_lo, vcc_lo
	s_cbranch_execz .LBB0_15
; %bb.14:
	s_clause 0x5
	global_load_dword v2, v22, s[24:25]
	global_load_dword v3, v22, s[24:25] offset:80
	global_load_dword v11, v22, s[24:25] offset:160
	;; [unrolled: 1-line block ×5, first 2 shown]
	v_mad_u64_u32 v[13:14], null, s20, v23, 0
	ds_read_b32 v27, v27
	v_lshl_add_u32 v4, v24, 2, v22
	v_mad_u64_u32 v[5:6], null, s22, v8, 0
	s_mov_b32 s26, 0x1f81f820
	s_mov_b32 s27, 0x3f6f81f8
	ds_read2_b32 v[15:16], v4 offset0:20 offset1:40
	v_mov_b32_e32 v7, v14
	ds_read2_b32 v[17:18], v4 offset0:60 offset1:80
	ds_read2_b32 v[0:1], v4 offset0:100 offset1:120
	s_mul_i32 s0, s21, 0x50
	s_mul_hi_u32 s22, s20, 0x50
	s_mul_i32 s19, s20, 0x50
	v_mad_u64_u32 v[19:20], null, s23, v8, v[6:7]
	v_mad_u64_u32 v[23:24], null, s21, v23, v[7:8]
	s_add_i32 s22, s22, s0
	s_clause 0x3
	global_load_dword v10, v22, s[24:25] offset:480
	global_load_dword v9, v22, s[24:25] offset:560
	;; [unrolled: 1-line block ×4, first 2 shown]
	v_mov_b32_e32 v6, v19
	s_waitcnt lgkmcnt(3)
	v_lshrrev_b32_e32 v19, 16, v27
	v_mov_b32_e32 v14, v23
	v_lshlrev_b64 v[5:6], 2, v[5:6]
	s_waitcnt lgkmcnt(2)
	v_lshrrev_b32_e32 v20, 16, v15
	v_lshrrev_b32_e32 v23, 16, v16
	s_waitcnt lgkmcnt(1)
	v_lshrrev_b32_e32 v24, 16, v17
	v_lshrrev_b32_e32 v28, 16, v18
	s_waitcnt lgkmcnt(0)
	v_lshrrev_b32_e32 v29, 16, v0
	v_lshlrev_b64 v[13:14], 2, v[13:14]
	v_add_co_u32 v5, vcc_lo, s6, v5
	v_add_co_ci_u32_e32 v6, vcc_lo, s7, v6, vcc_lo
	v_add_co_u32 v13, vcc_lo, v5, v13
	v_add_co_ci_u32_e32 v14, vcc_lo, v6, v14, vcc_lo
	s_waitcnt vmcnt(9)
	v_mul_f16_sdwa v30, v19, v2 dst_sel:DWORD dst_unused:UNUSED_PAD src0_sel:DWORD src1_sel:WORD_1
	v_mul_f16_sdwa v31, v27, v2 dst_sel:DWORD dst_unused:UNUSED_PAD src0_sel:DWORD src1_sel:WORD_1
	s_waitcnt vmcnt(8)
	v_mul_f16_sdwa v32, v20, v3 dst_sel:DWORD dst_unused:UNUSED_PAD src0_sel:DWORD src1_sel:WORD_1
	v_mul_f16_sdwa v33, v15, v3 dst_sel:DWORD dst_unused:UNUSED_PAD src0_sel:DWORD src1_sel:WORD_1
	s_waitcnt vmcnt(7)
	v_mul_f16_sdwa v34, v23, v11 dst_sel:DWORD dst_unused:UNUSED_PAD src0_sel:DWORD src1_sel:WORD_1
	v_fmac_f16_e32 v30, v27, v2
	v_mul_f16_sdwa v35, v16, v11 dst_sel:DWORD dst_unused:UNUSED_PAD src0_sel:DWORD src1_sel:WORD_1
	s_waitcnt vmcnt(6)
	v_mul_f16_sdwa v36, v24, v12 dst_sel:DWORD dst_unused:UNUSED_PAD src0_sel:DWORD src1_sel:WORD_1
	v_mul_f16_sdwa v37, v17, v12 dst_sel:DWORD dst_unused:UNUSED_PAD src0_sel:DWORD src1_sel:WORD_1
	v_fma_f16 v2, v2, v19, -v31
	v_fmac_f16_e32 v32, v15, v3
	v_fma_f16 v15, v3, v20, -v33
	v_cvt_f32_f16_e32 v3, v30
	s_waitcnt vmcnt(5)
	v_mul_f16_sdwa v38, v28, v25 dst_sel:DWORD dst_unused:UNUSED_PAD src0_sel:DWORD src1_sel:WORD_1
	v_fmac_f16_e32 v34, v16, v11
	v_fma_f16 v11, v11, v23, -v35
	v_fmac_f16_e32 v36, v17, v12
	v_fma_f16 v16, v12, v24, -v37
	v_cvt_f32_f16_e32 v12, v2
	v_cvt_f64_f32_e32 v[2:3], v3
	v_mul_f16_sdwa v39, v18, v25 dst_sel:DWORD dst_unused:UNUSED_PAD src0_sel:DWORD src1_sel:WORD_1
	v_fmac_f16_e32 v38, v18, v25
	v_cvt_f32_f16_e32 v18, v32
	v_cvt_f32_f16_e32 v23, v11
	v_cvt_f64_f32_e32 v[11:12], v12
	v_fma_f16 v17, v25, v28, -v39
	v_cvt_f32_f16_e32 v19, v15
	v_cvt_f32_f16_e32 v27, v16
	v_cvt_f64_f32_e32 v[15:16], v18
	v_cvt_f32_f16_e32 v20, v34
	v_cvt_f32_f16_e32 v31, v17
	v_cvt_f64_f32_e32 v[17:18], v19
	s_waitcnt vmcnt(4)
	v_mul_f16_sdwa v40, v29, v26 dst_sel:DWORD dst_unused:UNUSED_PAD src0_sel:DWORD src1_sel:WORD_1
	v_mul_f16_sdwa v41, v0, v26 dst_sel:DWORD dst_unused:UNUSED_PAD src0_sel:DWORD src1_sel:WORD_1
	v_cvt_f64_f32_e32 v[19:20], v20
	v_cvt_f32_f16_e32 v25, v36
	v_cvt_f64_f32_e32 v[23:24], v23
	v_fmac_f16_e32 v40, v0, v26
	v_fma_f16 v0, v26, v29, -v41
	v_cvt_f32_f16_e32 v29, v38
	v_cvt_f64_f32_e32 v[25:26], v25
	v_mul_f64 v[37:38], v[2:3], s[26:27]
	v_cvt_f64_f32_e32 v[27:28], v27
	v_cvt_f32_f16_e32 v0, v0
	v_cvt_f64_f32_e32 v[29:30], v29
	v_add_co_u32 v39, vcc_lo, v13, s19
	v_mul_f64 v[11:12], v[11:12], s[26:27]
	v_cvt_f32_f16_e32 v33, v40
	v_add_co_ci_u32_e32 v40, vcc_lo, s22, v14, vcc_lo
	v_mul_f64 v[15:16], v[15:16], s[26:27]
	v_cvt_f64_f32_e32 v[35:36], v0
	v_mul_f64 v[17:18], v[17:18], s[26:27]
	v_cvt_f64_f32_e32 v[31:32], v31
	v_add_co_u32 v41, vcc_lo, v39, s19
	v_mul_f64 v[19:20], v[19:20], s[26:27]
	v_mul_f64 v[23:24], v[23:24], s[26:27]
	v_add_co_ci_u32_e32 v42, vcc_lo, s22, v40, vcc_lo
	v_cvt_f64_f32_e32 v[33:34], v33
	v_mul_f64 v[25:26], v[25:26], s[26:27]
	v_and_or_b32 v0, 0x1ff, v38, v37
	v_mul_f64 v[27:28], v[27:28], s[26:27]
	v_lshrrev_b32_e32 v37, 16, v38
	v_mul_f64 v[29:30], v[29:30], s[26:27]
	v_cmp_ne_u32_e32 vcc_lo, 0, v0
	v_and_or_b32 v11, 0x1ff, v12, v11
	v_bfe_u32 v43, v12, 20, 11
	v_and_or_b32 v15, 0x1ff, v16, v15
	v_cndmask_b32_e64 v0, 0, 1, vcc_lo
	v_cmp_ne_u32_e32 vcc_lo, 0, v11
	v_and_or_b32 v17, 0x1ff, v18, v17
	v_mul_f64 v[31:32], v[31:32], s[26:27]
	v_mul_f64 v[2:3], v[35:36], s[26:27]
	v_and_or_b32 v19, 0x1ff, v20, v19
	v_cndmask_b32_e64 v11, 0, 1, vcc_lo
	v_cmp_ne_u32_e32 vcc_lo, 0, v15
	v_and_or_b32 v23, 0x1ff, v24, v23
	v_mul_f64 v[33:34], v[33:34], s[26:27]
	v_and_or_b32 v25, 0x1ff, v26, v25
	v_lshrrev_b32_e32 v35, 8, v38
	v_cndmask_b32_e64 v15, 0, 1, vcc_lo
	v_cmp_ne_u32_e32 vcc_lo, 0, v17
	v_and_or_b32 v27, 0x1ff, v28, v27
	v_and_or_b32 v29, 0x1ff, v30, v29
	v_bfe_u32 v36, v38, 20, 11
	v_lshrrev_b32_e32 v38, 8, v12
	v_cndmask_b32_e64 v17, 0, 1, vcc_lo
	v_cmp_ne_u32_e32 vcc_lo, 0, v19
	v_and_or_b32 v0, 0xffe, v35, v0
	v_lshrrev_b32_e32 v44, 8, v16
	v_bfe_u32 v45, v16, 20, 11
	v_bfe_u32 v47, v18, 20, 11
	v_cndmask_b32_e64 v19, 0, 1, vcc_lo
	v_cmp_ne_u32_e32 vcc_lo, 0, v23
	v_and_or_b32 v31, 0x1ff, v32, v31
	v_sub_nc_u32_e32 v62, 0x3f1, v36
	v_add_nc_u32_e32 v36, 0xfffffc10, v36
	v_sub_nc_u32_e32 v63, 0x3f1, v43
	v_cndmask_b32_e64 v23, 0, 1, vcc_lo
	v_cmp_ne_u32_e32 vcc_lo, 0, v25
	v_and_or_b32 v33, 0x1ff, v34, v33
	v_and_or_b32 v11, 0xffe, v38, v11
	v_lshrrev_b32_e32 v46, 8, v18
	v_bfe_u32 v49, v20, 20, 11
	v_cndmask_b32_e64 v25, 0, 1, vcc_lo
	v_cmp_ne_u32_e32 vcc_lo, 0, v27
	v_bfe_u32 v51, v24, 20, 11
	v_add_nc_u32_e32 v43, 0xfffffc10, v43
	v_sub_nc_u32_e32 v64, 0x3f1, v45
	v_sub_nc_u32_e32 v65, 0x3f1, v47
	v_cndmask_b32_e64 v27, 0, 1, vcc_lo
	v_cmp_ne_u32_e32 vcc_lo, 0, v29
	v_med3_i32 v35, v62, 0, 13
	v_med3_i32 v38, v63, 0, 13
	v_and_or_b32 v15, 0xffe, v44, v15
	v_or_b32_e32 v62, 0x1000, v0
	v_cndmask_b32_e64 v29, 0, 1, vcc_lo
	v_cmp_ne_u32_e32 vcc_lo, 0, v31
	v_lshl_or_b32 v63, v36, 12, v0
	v_lshrrev_b32_e32 v48, 8, v20
	v_lshrrev_b32_e32 v50, 8, v24
	v_bfe_u32 v53, v26, 20, 11
	v_cndmask_b32_e64 v31, 0, 1, vcc_lo
	v_cmp_ne_u32_e32 vcc_lo, 0, v33
	v_bfe_u32 v55, v28, 20, 11
	v_add_nc_u32_e32 v45, 0xfffffc10, v45
	v_sub_nc_u32_e32 v66, 0x3f1, v49
	v_sub_nc_u32_e32 v67, 0x3f1, v51
	v_cndmask_b32_e64 v33, 0, 1, vcc_lo
	v_cmp_ne_u32_e32 vcc_lo, 0, v0
	v_med3_i32 v44, v64, 0, 13
	v_and_or_b32 v17, 0xffe, v46, v17
	v_med3_i32 v46, v65, 0, 13
	v_or_b32_e32 v64, 0x1000, v11
	v_cndmask_b32_e64 v0, 0, 1, vcc_lo
	v_cmp_ne_u32_e32 vcc_lo, 0, v11
	v_lshl_or_b32 v65, v43, 12, v11
	v_lshrrev_b32_e32 v52, 8, v26
	v_lshrrev_b32_e32 v54, 8, v28
	v_bfe_u32 v57, v30, 20, 11
	v_cndmask_b32_e64 v11, 0, 1, vcc_lo
	v_cmp_ne_u32_e32 vcc_lo, 0, v15
	v_bfe_u32 v59, v32, 20, 11
	v_add_nc_u32_e32 v47, 0xfffffc10, v47
	v_sub_nc_u32_e32 v68, 0x3f1, v53
	v_sub_nc_u32_e32 v69, 0x3f1, v55
	v_and_or_b32 v19, 0xffe, v48, v19
	v_med3_i32 v48, v66, 0, 13
	v_and_or_b32 v23, 0xffe, v50, v23
	v_med3_i32 v50, v67, 0, 13
	v_or_b32_e32 v66, 0x1000, v15
	v_lshl_or_b32 v67, v45, 12, v15
	v_cndmask_b32_e64 v15, 0, 1, vcc_lo
	v_cmp_ne_u32_e32 vcc_lo, 0, v17
	v_lshrrev_b32_e32 v56, 8, v30
	v_lshrrev_b32_e32 v58, 8, v32
	v_bfe_u32 v61, v34, 20, 11
	v_add_nc_u32_e32 v49, 0xfffffc10, v49
	v_sub_nc_u32_e32 v70, 0x3f1, v57
	v_sub_nc_u32_e32 v71, 0x3f1, v59
	v_and_or_b32 v25, 0xffe, v52, v25
	v_med3_i32 v52, v68, 0, 13
	v_and_or_b32 v27, 0xffe, v54, v27
	v_med3_i32 v54, v69, 0, 13
	v_or_b32_e32 v68, 0x1000, v17
	v_lshl_or_b32 v69, v47, 12, v17
	v_cndmask_b32_e64 v17, 0, 1, vcc_lo
	v_cmp_ne_u32_e32 vcc_lo, 0, v19
	v_lshrrev_b32_e32 v60, 8, v34
	v_add_nc_u32_e32 v51, 0xfffffc10, v51
	v_sub_nc_u32_e32 v72, 0x3f1, v61
	v_and_or_b32 v29, 0xffe, v56, v29
	v_med3_i32 v56, v70, 0, 13
	v_and_or_b32 v31, 0xffe, v58, v31
	v_med3_i32 v58, v71, 0, 13
	v_or_b32_e32 v70, 0x1000, v19
	v_lshl_or_b32 v71, v49, 12, v19
	v_cndmask_b32_e64 v19, 0, 1, vcc_lo
	v_cmp_ne_u32_e32 vcc_lo, 0, v23
	v_add_nc_u32_e32 v53, 0xfffffc10, v53
	v_and_or_b32 v33, 0xffe, v60, v33
	v_med3_i32 v60, v72, 0, 13
	v_or_b32_e32 v72, 0x1000, v23
	v_lshl_or_b32 v73, v51, 12, v23
	v_cndmask_b32_e64 v23, 0, 1, vcc_lo
	v_cmp_ne_u32_e32 vcc_lo, 0, v25
	v_add_nc_u32_e32 v55, 0xfffffc10, v55
	v_or_b32_e32 v74, 0x1000, v25
	v_lshl_or_b32 v75, v53, 12, v25
	v_lshrrev_b32_e32 v83, v35, v62
	v_cndmask_b32_e64 v25, 0, 1, vcc_lo
	v_cmp_ne_u32_e32 vcc_lo, 0, v27
	v_add_nc_u32_e32 v57, 0xfffffc10, v57
	v_or_b32_e32 v76, 0x1000, v27
	v_lshl_or_b32 v77, v55, 12, v27
	v_lshrrev_b32_e32 v84, v38, v64
	v_cndmask_b32_e64 v27, 0, 1, vcc_lo
	v_cmp_ne_u32_e32 vcc_lo, 0, v29
	v_lshlrev_b32_e32 v35, v35, v83
	v_or_b32_e32 v78, 0x1000, v29
	v_lshl_or_b32 v79, v57, 12, v29
	v_lshrrev_b32_e32 v85, v44, v66
	v_cndmask_b32_e64 v29, 0, 1, vcc_lo
	v_lshlrev_b32_e32 v38, v38, v84
	v_cmp_ne_u32_e32 vcc_lo, v35, v62
	v_lshrrev_b32_e32 v86, v46, v68
	v_lshlrev_b32_e32 v44, v44, v85
	v_lshrrev_b32_e32 v87, v48, v70
	v_lshrrev_b32_e32 v88, v50, v72
	v_cndmask_b32_e64 v35, 0, 1, vcc_lo
	v_cmp_ne_u32_e32 vcc_lo, v38, v64
	v_lshlrev_b32_e32 v46, v46, v86
	v_lshlrev_b32_e32 v48, v48, v87
	v_lshrrev_b32_e32 v89, v52, v74
	v_lshlrev_b32_e32 v50, v50, v88
	v_cndmask_b32_e64 v38, 0, 1, vcc_lo
	v_cmp_ne_u32_e32 vcc_lo, v44, v66
	v_lshrrev_b32_e32 v90, v54, v76
	v_lshlrev_b32_e32 v52, v52, v89
	v_or_b32_e32 v80, 0x1000, v31
	v_lshrrev_b32_e32 v91, v56, v78
	v_cndmask_b32_e64 v44, 0, 1, vcc_lo
	v_cmp_ne_u32_e32 vcc_lo, v46, v68
	v_lshlrev_b32_e32 v54, v54, v90
	v_lshrrev_b32_e32 v92, v58, v80
	v_lshlrev_b32_e32 v56, v56, v91
	v_or_b32_e32 v35, v83, v35
	v_cndmask_b32_e64 v46, 0, 1, vcc_lo
	v_cmp_ne_u32_e32 vcc_lo, v48, v70
	v_lshlrev_b32_e32 v58, v58, v92
	v_or_b32_e32 v38, v84, v38
	v_or_b32_e32 v44, v85, v44
	;; [unrolled: 1-line block ×3, first 2 shown]
	v_cndmask_b32_e64 v48, 0, 1, vcc_lo
	v_cmp_ne_u32_e32 vcc_lo, v50, v72
	v_add_nc_u32_e32 v59, 0xfffffc10, v59
	v_lshl_or_b32 v0, v0, 9, 0x7c00
	v_lshl_or_b32 v11, v11, 9, 0x7c00
	v_or_b32_e32 v48, v87, v48
	v_cndmask_b32_e64 v50, 0, 1, vcc_lo
	v_cmp_ne_u32_e32 vcc_lo, v52, v74
	v_lshl_or_b32 v81, v59, 12, v31
	v_lshl_or_b32 v15, v15, 9, 0x7c00
	;; [unrolled: 1-line block ×3, first 2 shown]
	v_or_b32_e32 v50, v88, v50
	v_cndmask_b32_e64 v52, 0, 1, vcc_lo
	v_cmp_ne_u32_e32 vcc_lo, v54, v76
	v_lshl_or_b32 v19, v19, 9, 0x7c00
	v_lshl_or_b32 v23, v23, 9, 0x7c00
	;; [unrolled: 1-line block ×3, first 2 shown]
	v_or_b32_e32 v52, v89, v52
	v_cndmask_b32_e64 v54, 0, 1, vcc_lo
	v_cmp_ne_u32_e32 vcc_lo, v56, v78
	v_lshrrev_b32_e32 v16, 16, v16
	v_lshrrev_b32_e32 v12, 16, v12
	v_lshl_or_b32 v27, v27, 9, 0x7c00
	v_or_b32_e32 v54, v90, v54
	v_cndmask_b32_e64 v56, 0, 1, vcc_lo
	v_cmp_ne_u32_e32 vcc_lo, v58, v80
	v_lshrrev_b32_e32 v18, 16, v18
	v_lshrrev_b32_e32 v26, 16, v26
	v_lshl_or_b32 v29, v29, 9, 0x7c00
	v_or_b32_e32 v56, v91, v56
	v_cndmask_b32_e64 v58, 0, 1, vcc_lo
	v_cmp_gt_i32_e32 vcc_lo, 1, v36
	v_lshrrev_b32_e32 v28, 16, v28
	v_or_b32_e32 v82, 0x1000, v33
	v_lshrrev_b32_e32 v20, 16, v20
	v_or_b32_e32 v58, v92, v58
	v_cndmask_b32_e32 v35, v63, v35, vcc_lo
	v_cmp_gt_i32_e32 vcc_lo, 1, v43
	v_lshrrev_b32_e32 v24, 16, v24
	v_and_or_b32 v2, 0x1ff, v3, v2
	v_and_b32_e32 v62, 7, v35
	v_cndmask_b32_e32 v38, v65, v38, vcc_lo
	v_cmp_gt_i32_e32 vcc_lo, 1, v45
	v_lshrrev_b32_e32 v35, 2, v35
	v_cmp_eq_u32_e64 s0, 3, v62
	v_and_b32_e32 v63, 7, v38
	v_cndmask_b32_e32 v44, v67, v44, vcc_lo
	v_cmp_gt_i32_e32 vcc_lo, 1, v47
	v_lshrrev_b32_e32 v38, 2, v38
	v_cmp_lt_i32_e64 s1, 5, v63
	v_and_b32_e32 v64, 7, v44
	v_cndmask_b32_e32 v46, v69, v46, vcc_lo
	v_cmp_gt_i32_e32 vcc_lo, 1, v49
	v_cmp_eq_u32_e64 s2, 3, v63
	v_lshrrev_b32_e32 v44, 2, v44
	v_cmp_lt_i32_e64 s3, 5, v64
	v_and_b32_e32 v65, 7, v46
	v_cndmask_b32_e32 v48, v71, v48, vcc_lo
	v_cmp_gt_i32_e32 vcc_lo, 1, v51
	v_cmp_eq_u32_e64 s4, 3, v64
	;; [unrolled: 6-line block ×6, first 2 shown]
	v_lshrrev_b32_e32 v54, 2, v54
	v_cmp_lt_i32_e64 s13, 5, v69
	v_and_b32_e32 v70, 7, v56
	v_cndmask_b32_e32 v58, v81, v58, vcc_lo
	v_cmp_lt_i32_e32 vcc_lo, 5, v62
	v_cmp_eq_u32_e64 s14, 3, v69
	v_lshrrev_b32_e32 v56, 2, v56
	v_cmp_lt_i32_e64 s15, 5, v70
	v_and_b32_e32 v71, 7, v58
	s_or_b32 vcc_lo, s0, vcc_lo
	v_cmp_eq_u32_e64 s16, 3, v70
	v_add_co_ci_u32_e32 v35, vcc_lo, 0, v35, vcc_lo
	s_or_b32 vcc_lo, s2, s1
	v_cmp_lt_i32_e64 s17, 5, v71
	v_add_co_ci_u32_e32 v38, vcc_lo, 0, v38, vcc_lo
	s_or_b32 vcc_lo, s4, s3
	v_cmp_eq_u32_e64 s18, 3, v71
	v_add_co_ci_u32_e32 v44, vcc_lo, 0, v44, vcc_lo
	s_or_b32 vcc_lo, s6, s5
	v_lshrrev_b32_e32 v58, 2, v58
	v_add_co_ci_u32_e32 v46, vcc_lo, 0, v46, vcc_lo
	s_or_b32 vcc_lo, s8, s7
	v_add_co_ci_u32_e32 v48, vcc_lo, 0, v48, vcc_lo
	s_or_b32 vcc_lo, s10, s9
	;; [unrolled: 2-line block ×6, first 2 shown]
	v_add_co_ci_u32_e32 v58, vcc_lo, 0, v58, vcc_lo
	v_cmp_gt_i32_e32 vcc_lo, 31, v36
	v_cndmask_b32_e32 v35, 0x7c00, v35, vcc_lo
	v_cmp_gt_i32_e32 vcc_lo, 31, v43
	v_cndmask_b32_e32 v38, 0x7c00, v38, vcc_lo
	;; [unrolled: 2-line block ×9, first 2 shown]
	v_cmp_eq_u32_e32 vcc_lo, 0x40f, v36
	v_cndmask_b32_e32 v0, v35, v0, vcc_lo
	v_cmp_eq_u32_e32 vcc_lo, 0x40f, v43
	v_and_or_b32 v0, 0x8000, v37, v0
	v_cndmask_b32_e32 v11, v38, v11, vcc_lo
	v_cmp_eq_u32_e32 vcc_lo, 0x40f, v45
	v_and_b32_e32 v0, 0xffff, v0
	v_and_or_b32 v11, 0x8000, v12, v11
	v_cndmask_b32_e32 v15, v44, v15, vcc_lo
	v_cmp_eq_u32_e32 vcc_lo, 0x40f, v47
	v_lshl_or_b32 v0, v11, 16, v0
	v_and_or_b32 v15, 0x8000, v16, v15
	v_cndmask_b32_e32 v17, v46, v17, vcc_lo
	v_cmp_eq_u32_e32 vcc_lo, 0x40f, v49
	v_and_b32_e32 v15, 0xffff, v15
	v_and_or_b32 v12, 0x8000, v18, v17
	v_cndmask_b32_e32 v19, v48, v19, vcc_lo
	v_cmp_eq_u32_e32 vcc_lo, 0x40f, v51
	v_lshl_or_b32 v11, v12, 16, v15
	global_store_dword v[13:14], v0, off
	global_store_dword v[39:40], v11, off
	v_cndmask_b32_e32 v23, v50, v23, vcc_lo
	v_cmp_eq_u32_e32 vcc_lo, 0x40f, v53
	v_lshrrev_b32_e32 v13, v60, v82
	v_and_or_b32 v16, 0x8000, v20, v19
	v_lshrrev_b32_e32 v11, 16, v30
	v_and_or_b32 v17, 0x8000, v24, v23
	v_cndmask_b32_e32 v25, v52, v25, vcc_lo
	v_cmp_eq_u32_e32 vcc_lo, 0x40f, v55
	v_and_b32_e32 v16, 0xffff, v16
	v_add_nc_u32_e32 v23, 0xfffffc10, v61
	v_and_or_b32 v18, 0x8000, v26, v25
	v_cndmask_b32_e32 v27, v54, v27, vcc_lo
	v_cmp_eq_u32_e32 vcc_lo, 0x40f, v57
	v_lshl_or_b32 v19, v17, 16, v16
	v_bfe_u32 v17, v3, 20, 11
	v_and_b32_e32 v15, 0xffff, v18
	v_and_or_b32 v12, 0x8000, v28, v27
	v_cndmask_b32_e32 v29, v56, v29, vcc_lo
	v_cmp_ne_u32_e32 vcc_lo, 0, v31
	global_store_dword v[41:42], v19, off
	v_lshl_or_b32 v20, v12, 16, v15
	v_lshlrev_b32_e32 v12, v60, v13
	v_cndmask_b32_e64 v0, 0, 1, vcc_lo
	v_cmp_gt_i32_e32 vcc_lo, 31, v59
	v_lshrrev_b32_e32 v15, 16, v1
	v_and_or_b32 v11, 0x8000, v11, v29
	v_lshl_or_b32 v0, v0, 9, 0x7c00
	v_cndmask_b32_e32 v14, 0x7c00, v58, vcc_lo
	v_cmp_eq_u32_e32 vcc_lo, 0x40f, v59
	v_and_b32_e32 v25, 0xffff, v11
	v_cndmask_b32_e32 v0, v14, v0, vcc_lo
	v_cmp_ne_u32_e32 vcc_lo, v12, v82
	v_lshrrev_b32_e32 v14, 16, v32
	v_cndmask_b32_e64 v12, 0, 1, vcc_lo
	v_and_or_b32 v16, 0x8000, v14, v0
	v_cmp_ne_u32_e32 vcc_lo, 0, v2
	v_lshrrev_b32_e32 v14, 8, v3
	v_lshrrev_b32_e32 v3, 16, v3
	v_or_b32_e32 v0, v13, v12
	s_waitcnt vmcnt(3)
	v_mul_f16_sdwa v13, v15, v10 dst_sel:DWORD dst_unused:UNUSED_PAD src0_sel:DWORD src1_sel:WORD_1
	v_cndmask_b32_e64 v2, 0, 1, vcc_lo
	v_lshl_or_b32 v12, v23, 12, v33
	v_cmp_gt_i32_e32 vcc_lo, 1, v23
	v_lshl_or_b32 v25, v16, 16, v25
	v_fmac_f16_e32 v13, v1, v10
	v_and_or_b32 v24, 0xffe, v14, v2
	v_mul_f16_sdwa v16, v1, v10 dst_sel:DWORD dst_unused:UNUSED_PAD src0_sel:DWORD src1_sel:WORD_1
	v_cndmask_b32_e32 v18, v12, v0, vcc_lo
	v_sub_nc_u32_e32 v0, 0x3f1, v17
	v_cvt_f32_f16_e32 v2, v13
	v_or_b32_e32 v27, 0x1000, v24
	v_add_co_u32 v13, vcc_lo, v41, s19
	v_and_b32_e32 v26, 7, v18
	v_cvt_f64_f32_e32 v[11:12], v2
	v_med3_i32 v28, v0, 0, 13
	v_add_co_ci_u32_e32 v14, vcc_lo, s22, v42, vcc_lo
	v_cmp_lt_i32_e32 vcc_lo, 5, v26
	v_cmp_eq_u32_e64 s0, 3, v26
	v_lshrrev_b32_e32 v26, v28, v27
	v_lshrrev_b32_e32 v18, 2, v18
	v_fma_f16 v10, v10, v15, -v16
	global_load_dword v0, v22, s[24:25] offset:800
	s_or_b32 vcc_lo, s0, vcc_lo
	v_lshlrev_b32_e32 v15, v28, v26
	v_add_co_ci_u32_e32 v18, vcc_lo, 0, v18, vcc_lo
	v_cvt_f32_f16_e32 v16, v10
	v_add_co_u32 v1, s1, v13, s19
	v_cmp_ne_u32_e32 vcc_lo, v15, v27
	v_add_nc_u32_e32 v27, 0xfffffc10, v17
	v_cvt_f64_f32_e32 v[15:16], v16
	v_add_co_ci_u32_e64 v2, s1, s22, v14, s1
	v_mul_f64 v[10:11], v[11:12], s[26:27]
	v_cndmask_b32_e64 v12, 0, 1, vcc_lo
	v_cmp_ne_u32_e32 vcc_lo, 0, v33
	v_or_b32_e32 v12, v26, v12
	v_cndmask_b32_e64 v17, 0, 1, vcc_lo
	v_cmp_gt_i32_e32 vcc_lo, 31, v23
	v_lshl_or_b32 v26, v27, 12, v24
	v_lshl_or_b32 v29, v17, 9, 0x7c00
	v_cndmask_b32_e32 v28, 0x7c00, v18, vcc_lo
	v_cmp_gt_i32_e32 vcc_lo, 1, v27
	ds_read2_b32 v[17:18], v4 offset0:140 offset1:160
	global_store_dword v[13:14], v20, off
	global_store_dword v[1:2], v25, off
	v_cndmask_b32_e32 v12, v26, v12, vcc_lo
	v_cmp_eq_u32_e32 vcc_lo, 0x40f, v23
	v_lshrrev_b32_e32 v26, 16, v34
	v_and_or_b32 v10, 0x1ff, v11, v10
	v_and_b32_e32 v19, 7, v12
	v_lshrrev_b32_e32 v14, 2, v12
	v_mul_f64 v[12:13], v[15:16], s[26:27]
	v_cmp_ne_u32_e64 s1, 0, v10
	v_cndmask_b32_e32 v23, v28, v29, vcc_lo
	v_cmp_lt_i32_e32 vcc_lo, 5, v19
	v_cmp_eq_u32_e64 s0, 3, v19
	v_lshrrev_b32_e32 v15, 8, v11
	v_cndmask_b32_e64 v10, 0, 1, s1
	v_bfe_u32 v16, v11, 20, 11
	v_and_or_b32 v20, 0x8000, v26, v23
	s_or_b32 vcc_lo, s0, vcc_lo
	s_waitcnt lgkmcnt(0)
	v_lshrrev_b32_e32 v19, 16, v17
	v_add_co_ci_u32_e32 v14, vcc_lo, 0, v14, vcc_lo
	v_and_or_b32 v23, 0xffe, v15, v10
	v_sub_nc_u32_e32 v10, 0x3f1, v16
	v_cmp_ne_u32_e32 vcc_lo, 0, v24
	s_waitcnt vmcnt(3)
	v_mul_f16_sdwa v15, v19, v9 dst_sel:DWORD dst_unused:UNUSED_PAD src0_sel:DWORD src1_sel:WORD_1
	v_add_nc_u32_e32 v16, 0xfffffc10, v16
	v_or_b32_e32 v25, 0x1000, v23
	v_med3_i32 v10, v10, 0, 13
	v_cndmask_b32_e64 v24, 0, 1, vcc_lo
	v_cmp_gt_i32_e32 vcc_lo, 31, v27
	v_and_or_b32 v12, 0x1ff, v13, v12
	v_fmac_f16_e32 v15, v17, v9
	v_lshrrev_b32_e32 v26, v10, v25
	v_lshl_or_b32 v24, v24, 9, 0x7c00
	v_cndmask_b32_e32 v14, 0x7c00, v14, vcc_lo
	v_cmp_eq_u32_e32 vcc_lo, 0x40f, v27
	v_cvt_f32_f16_e32 v15, v15
	v_lshlrev_b32_e32 v10, v10, v26
	v_lshrrev_b32_e32 v27, 8, v13
	v_bfe_u32 v28, v13, 20, 11
	v_cndmask_b32_e32 v24, v14, v24, vcc_lo
	v_cmp_ne_u32_e32 vcc_lo, 0, v12
	v_cvt_f64_f32_e32 v[14:15], v15
	v_mul_f16_sdwa v17, v17, v9 dst_sel:DWORD dst_unused:UNUSED_PAD src0_sel:DWORD src1_sel:WORD_1
	global_load_dword v29, v22, s[24:25] offset:880
	v_and_or_b32 v3, 0x8000, v3, v24
	v_cndmask_b32_e64 v12, 0, 1, vcc_lo
	v_cmp_ne_u32_e32 vcc_lo, v10, v25
	v_fma_f16 v17, v9, v19, -v17
	v_lshrrev_b32_e32 v13, 16, v13
	global_load_dword v22, v22, s[24:25] offset:960
	v_and_or_b32 v25, 0xffe, v27, v12
	v_cndmask_b32_e64 v10, 0, 1, vcc_lo
	v_cmp_gt_i32_e32 vcc_lo, 1, v16
	v_sub_nc_u32_e32 v12, 0x3f1, v28
	v_or_b32_e32 v27, 0x1000, v25
	v_or_b32_e32 v10, v26, v10
	v_lshl_or_b32 v26, v16, 12, v23
	v_med3_i32 v12, v12, 0, 13
	v_cndmask_b32_e32 v26, v26, v10, vcc_lo
	v_lshrrev_b32_e32 v19, v12, v27
	v_mul_f64 v[9:10], v[14:15], s[26:27]
	v_cvt_f32_f16_e32 v14, v17
	v_and_b32_e32 v17, 0xffff, v20
	v_and_b32_e32 v24, 7, v26
	v_lshrrev_b32_e32 v20, 2, v26
	v_lshlrev_b32_e32 v12, v12, v19
	v_cvt_f64_f32_e32 v[14:15], v14
	v_lshl_or_b32 v3, v3, 16, v17
	v_cmp_lt_i32_e32 vcc_lo, 5, v24
	v_cmp_eq_u32_e64 s0, 3, v24
	v_cmp_ne_u32_e64 s1, v12, v27
	v_add_nc_u32_e32 v24, 0xfffffc10, v28
	s_or_b32 vcc_lo, s0, vcc_lo
	v_cndmask_b32_e64 v12, 0, 1, s1
	v_add_co_ci_u32_e32 v20, vcc_lo, 0, v20, vcc_lo
	v_cmp_ne_u32_e32 vcc_lo, 0, v23
	v_or_b32_e32 v12, v19, v12
	v_lshl_or_b32 v19, v24, 12, v25
	v_and_or_b32 v9, 0x1ff, v10, v9
	v_cndmask_b32_e64 v23, 0, 1, vcc_lo
	v_cmp_gt_i32_e32 vcc_lo, 31, v16
	v_bfe_u32 v26, v10, 20, 11
	v_lshl_or_b32 v23, v23, 9, 0x7c00
	v_cndmask_b32_e32 v20, 0x7c00, v20, vcc_lo
	v_cmp_gt_i32_e32 vcc_lo, 1, v24
	v_cndmask_b32_e32 v19, v19, v12, vcc_lo
	v_cmp_eq_u32_e32 vcc_lo, 0x40f, v16
	v_cndmask_b32_e32 v16, v20, v23, vcc_lo
	v_lshrrev_b32_e32 v20, 16, v11
	v_mul_f64 v[11:12], v[14:15], s[26:27]
	v_cmp_ne_u32_e32 vcc_lo, 0, v9
	v_and_b32_e32 v23, 7, v19
	v_lshrrev_b32_e32 v14, 8, v10
	v_lshrrev_b32_e32 v15, 2, v19
	;; [unrolled: 1-line block ×3, first 2 shown]
	v_cndmask_b32_e64 v9, 0, 1, vcc_lo
	v_cmp_lt_i32_e32 vcc_lo, 5, v23
	v_cmp_eq_u32_e64 s0, 3, v23
	v_and_or_b32 v16, 0x8000, v20, v16
	s_waitcnt vmcnt(4)
	v_mul_f16_sdwa v27, v19, v7 dst_sel:DWORD dst_unused:UNUSED_PAD src0_sel:DWORD src1_sel:WORD_1
	v_and_or_b32 v9, 0xffe, v14, v9
	v_sub_nc_u32_e32 v14, 0x3f1, v26
	s_or_b32 vcc_lo, s0, vcc_lo
	v_add_nc_u32_e32 v26, 0xfffffc10, v26
	v_add_co_ci_u32_e32 v15, vcc_lo, 0, v15, vcc_lo
	v_or_b32_e32 v23, 0x1000, v9
	v_med3_i32 v14, v14, 0, 13
	v_cmp_gt_i32_e32 vcc_lo, 31, v24
	v_fmac_f16_e32 v27, v18, v7
	v_and_b32_e32 v16, 0xffff, v16
	v_and_or_b32 v11, 0x1ff, v12, v11
	v_lshrrev_b32_e32 v28, v14, v23
	v_cndmask_b32_e32 v20, 0x7c00, v15, vcc_lo
	v_cmp_ne_u32_e32 vcc_lo, 0, v25
	v_bfe_u32 v31, v12, 20, 11
	v_cmp_eq_u32_e64 s1, 0x40f, v26
	v_lshlrev_b32_e32 v30, v14, v28
	v_cvt_f32_f16_e32 v14, v27
	v_cndmask_b32_e64 v25, 0, 1, vcc_lo
	v_cmp_ne_u32_e32 vcc_lo, 0, v11
	v_lshrrev_b32_e32 v27, 8, v12
	v_lshrrev_b32_e32 v10, 16, v10
	v_cvt_f64_f32_e32 v[14:15], v14
	v_lshl_or_b32 v25, v25, 9, 0x7c00
	v_cndmask_b32_e64 v11, 0, 1, vcc_lo
	v_cmp_ne_u32_e32 vcc_lo, v30, v23
	v_and_or_b32 v11, 0xffe, v27, v11
	v_sub_nc_u32_e32 v27, 0x3f1, v31
	v_cndmask_b32_e64 v23, 0, 1, vcc_lo
	v_cmp_eq_u32_e32 vcc_lo, 0x40f, v24
	v_or_b32_e32 v30, 0x1000, v11
	v_med3_i32 v27, v27, 0, 13
	v_or_b32_e32 v23, v28, v23
	v_lshl_or_b32 v28, v26, 12, v9
	v_cndmask_b32_e32 v20, v20, v25, vcc_lo
	v_cmp_gt_i32_e32 vcc_lo, 1, v26
	v_lshrrev_b32_e32 v24, v27, v30
	v_and_or_b32 v17, 0x8000, v13, v20
	v_cndmask_b32_e32 v23, v28, v23, vcc_lo
	v_lshlrev_b32_e32 v25, v27, v24
	v_mul_f64 v[13:14], v[14:15], s[26:27]
	v_mul_f16_sdwa v15, v18, v7 dst_sel:DWORD dst_unused:UNUSED_PAD src0_sel:DWORD src1_sel:WORD_1
	v_add_co_u32 v1, vcc_lo, v1, s19
	v_and_b32_e32 v20, 7, v23
	v_cmp_ne_u32_e64 s0, v25, v30
	v_fma_f16 v7, v7, v19, -v15
	v_add_co_ci_u32_e32 v2, vcc_lo, s22, v2, vcc_lo
	v_cmp_lt_i32_e32 vcc_lo, 5, v20
	v_cndmask_b32_e64 v15, 0, 1, s0
	v_cmp_eq_u32_e64 s0, 3, v20
	v_lshl_or_b32 v27, v17, 16, v16
	v_cvt_f32_f16_e32 v7, v7
	v_lshrrev_b32_e32 v17, 2, v23
	v_add_nc_u32_e32 v19, 0xfffffc10, v31
	s_or_b32 vcc_lo, s0, vcc_lo
	v_or_b32_e32 v18, v24, v15
	v_cvt_f64_f32_e32 v[15:16], v7
	v_add_co_ci_u32_e32 v7, vcc_lo, 0, v17, vcc_lo
	v_lshl_or_b32 v20, v19, 12, v11
	v_cmp_gt_i32_e32 vcc_lo, 1, v19
	v_and_or_b32 v13, 0x1ff, v14, v13
	v_bfe_u32 v23, v14, 20, 11
	v_cndmask_b32_e32 v20, v20, v18, vcc_lo
	v_cmp_gt_i32_e32 vcc_lo, 31, v26
	v_lshrrev_b32_e32 v18, 8, v14
	v_sub_nc_u32_e32 v24, 0x3f1, v23
	v_lshrrev_b32_e32 v26, 16, v12
	v_and_b32_e32 v17, 7, v20
	v_cndmask_b32_e32 v7, 0x7c00, v7, vcc_lo
	v_cmp_ne_u32_e32 vcc_lo, 0, v9
	v_med3_i32 v24, v24, 0, 13
	v_cmp_eq_u32_e64 s0, 3, v17
	v_cndmask_b32_e64 v9, 0, 1, vcc_lo
	v_cmp_ne_u32_e32 vcc_lo, 0, v13
	v_mul_f64 v[15:16], v[15:16], s[26:27]
	v_lshl_or_b32 v9, v9, 9, 0x7c00
	v_cndmask_b32_e64 v13, 0, 1, vcc_lo
	v_cmp_lt_i32_e32 vcc_lo, 5, v17
	v_cndmask_b32_e64 v7, v7, v9, s1
	v_and_or_b32 v13, 0xffe, v18, v13
	ds_read2_b32 v[17:18], v4 offset0:180 offset1:200
	v_lshrrev_b32_e32 v9, 2, v20
	s_or_b32 vcc_lo, s0, vcc_lo
	v_and_or_b32 v7, 0x8000, v10, v7
	v_or_b32_e32 v20, 0x1000, v13
	v_add_co_ci_u32_e32 v9, vcc_lo, 0, v9, vcc_lo
	v_cmp_ne_u32_e32 vcc_lo, 0, v11
	v_lshrrev_b32_e32 v25, v24, v20
	v_and_b32_e32 v7, 0xffff, v7
	v_lshrrev_b32_e32 v12, 8, v16
	v_cndmask_b32_e64 v11, 0, 1, vcc_lo
	v_cmp_gt_i32_e32 vcc_lo, 31, v19
	v_lshlrev_b32_e32 v10, v24, v25
	v_lshl_or_b32 v11, v11, 9, 0x7c00
	v_cndmask_b32_e32 v9, 0x7c00, v9, vcc_lo
	s_waitcnt lgkmcnt(0)
	v_lshrrev_b32_e32 v24, 16, v17
	v_cmp_eq_u32_e32 vcc_lo, 0x40f, v19
	v_cndmask_b32_e32 v19, v9, v11, vcc_lo
	v_and_or_b32 v9, 0x1ff, v16, v15
	s_waitcnt vmcnt(3)
	v_mul_f16_sdwa v11, v24, v8 dst_sel:DWORD dst_unused:UNUSED_PAD src0_sel:DWORD src1_sel:WORD_1
	v_cmp_ne_u32_e32 vcc_lo, v10, v20
	v_add_nc_u32_e32 v15, 0xfffffc10, v23
	v_bfe_u32 v20, v16, 20, 11
	v_and_or_b32 v19, 0x8000, v26, v19
	v_fmac_f16_e32 v11, v17, v8
	v_cndmask_b32_e64 v10, 0, 1, vcc_lo
	v_cmp_ne_u32_e32 vcc_lo, 0, v9
	v_lshl_or_b32 v23, v15, 12, v13
	v_mul_f16_sdwa v17, v17, v8 dst_sel:DWORD dst_unused:UNUSED_PAD src0_sel:DWORD src1_sel:WORD_1
	v_cvt_f32_f16_e32 v11, v11
	v_or_b32_e32 v10, v25, v10
	v_cndmask_b32_e64 v9, 0, 1, vcc_lo
	v_cmp_gt_i32_e32 vcc_lo, 1, v15
	v_fma_f16 v8, v8, v24, -v17
	v_lshrrev_b32_e32 v24, 16, v14
	v_and_or_b32 v25, 0xffe, v12, v9
	v_sub_nc_u32_e32 v12, 0x3f1, v20
	v_cndmask_b32_e32 v23, v23, v10, vcc_lo
	v_cvt_f64_f32_e32 v[9:10], v11
	v_add_co_u32 v11, vcc_lo, v1, s19
	v_or_b32_e32 v28, 0x1000, v25
	v_med3_i32 v30, v12, 0, 13
	v_add_co_ci_u32_e32 v12, vcc_lo, s22, v2, vcc_lo
	v_and_b32_e32 v31, 7, v23
	global_store_dword v[1:2], v3, off
	global_store_dword v[11:12], v27, off
	v_lshrrev_b32_e32 v26, v30, v28
	v_lshl_or_b32 v3, v19, 16, v7
	v_cmp_lt_i32_e32 vcc_lo, 5, v31
	v_cmp_eq_u32_e64 s0, 3, v31
	v_lshrrev_b32_e32 v7, 2, v23
	v_lshlrev_b32_e32 v1, v30, v26
	v_add_nc_u32_e32 v20, 0xfffffc10, v20
	v_cvt_f32_f16_e32 v8, v8
	s_or_b32 vcc_lo, s0, vcc_lo
	v_cmp_ne_u32_e64 s1, v1, v28
	v_add_co_ci_u32_e32 v17, vcc_lo, 0, v7, vcc_lo
	v_mul_f64 v[1:2], v[9:10], s[26:27]
	v_cmp_ne_u32_e32 vcc_lo, 0, v13
	v_cndmask_b32_e64 v19, 0, 1, s1
	v_lshl_or_b32 v9, v20, 12, v25
	v_cndmask_b32_e64 v13, 0, 1, vcc_lo
	v_or_b32_e32 v7, v26, v19
	v_cmp_gt_i32_e32 vcc_lo, 1, v20
	v_lshrrev_b32_e32 v26, 16, v16
	v_cndmask_b32_e32 v19, v9, v7, vcc_lo
	v_cvt_f64_f32_e32 v[7:8], v8
	v_add_co_u32 v9, vcc_lo, v11, s19
	v_add_co_ci_u32_e32 v10, vcc_lo, s22, v12, vcc_lo
	v_cmp_gt_i32_e32 vcc_lo, 31, v15
	v_lshl_or_b32 v12, v13, 9, 0x7c00
	v_and_b32_e32 v13, 7, v19
	v_and_or_b32 v1, 0x1ff, v2, v1
	global_store_dword v[9:10], v3, off
	v_cndmask_b32_e32 v11, 0x7c00, v17, vcc_lo
	v_cmp_eq_u32_e32 vcc_lo, 0x40f, v15
	v_bfe_u32 v15, v2, 20, 11
	v_cmp_ne_u32_e64 s1, 0, v1
	v_cmp_eq_u32_e64 s0, 3, v13
	v_mad_u64_u32 v[9:10], null, 0xa0, s20, v[9:10]
	v_cndmask_b32_e32 v3, v11, v12, vcc_lo
	v_cndmask_b32_e64 v1, 0, 1, s1
	v_lshrrev_b32_e32 v12, 8, v2
	v_cmp_lt_i32_e32 vcc_lo, 5, v13
	v_lshrrev_b32_e32 v11, 2, v19
	v_mul_f64 v[7:8], v[7:8], s[26:27]
	v_lshrrev_b32_e32 v19, 16, v18
	v_and_or_b32 v17, 0xffe, v12, v1
	v_sub_nc_u32_e32 v1, 0x3f1, v15
	s_or_b32 vcc_lo, s0, vcc_lo
	v_and_or_b32 v3, 0x8000, v24, v3
	v_add_co_ci_u32_e32 v11, vcc_lo, 0, v11, vcc_lo
	v_cmp_ne_u32_e32 vcc_lo, 0, v25
	v_or_b32_e32 v23, 0x1000, v17
	v_med3_i32 v1, v1, 0, 13
	s_waitcnt vmcnt(2)
	v_mul_f16_sdwa v13, v19, v0 dst_sel:DWORD dst_unused:UNUSED_PAD src0_sel:DWORD src1_sel:WORD_1
	v_and_b32_e32 v3, 0xffff, v3
	v_cndmask_b32_e64 v12, 0, 1, vcc_lo
	v_cmp_gt_i32_e32 vcc_lo, 31, v20
	v_lshrrev_b32_e32 v25, v1, v23
	v_fmac_f16_e32 v13, v18, v0
	v_mul_f16_sdwa v18, v18, v0 dst_sel:DWORD dst_unused:UNUSED_PAD src0_sel:DWORD src1_sel:WORD_1
	v_lshl_or_b32 v12, v12, 9, 0x7c00
	v_cndmask_b32_e32 v11, 0x7c00, v11, vcc_lo
	v_cmp_eq_u32_e32 vcc_lo, 0x40f, v20
	v_lshlrev_b32_e32 v1, v1, v25
	v_and_or_b32 v7, 0x1ff, v8, v7
	v_cvt_f32_f16_e32 v13, v13
	v_bfe_u32 v27, v8, 20, 11
	v_cndmask_b32_e32 v20, v11, v12, vcc_lo
	v_cmp_ne_u32_e32 vcc_lo, v1, v23
	v_mad_u64_u32 v[11:12], null, s20, v21, 0
	v_cvt_f64_f32_e32 v[13:14], v13
	v_add_nc_u32_e32 v23, 0xfffffc10, v15
	v_cndmask_b32_e64 v1, 0, 1, vcc_lo
	v_cmp_ne_u32_e32 vcc_lo, 0, v7
	v_lshrrev_b32_e32 v15, 8, v8
	v_and_or_b32 v20, 0x8000, v26, v20
	v_or_b32_e32 v16, v25, v1
	v_cndmask_b32_e64 v7, 0, 1, vcc_lo
	v_lshl_or_b32 v25, v23, 12, v17
	v_cmp_gt_i32_e32 vcc_lo, 1, v23
	v_mov_b32_e32 v1, v12
	v_sub_nc_u32_e32 v12, 0x3f1, v27
	v_and_or_b32 v7, 0xffe, v15, v7
	v_lshl_or_b32 v20, v20, 16, v3
	v_cndmask_b32_e32 v25, v25, v16, vcc_lo
	v_mad_u64_u32 v[15:16], null, s21, v21, v[1:2]
	v_or_b32_e32 v1, 0x1000, v7
	v_med3_i32 v16, v12, 0, 13
	v_and_b32_e32 v12, 7, v25
	v_lshrrev_b32_e32 v2, 16, v2
	v_mul_f64 v[13:14], v[13:14], s[26:27]
	v_lshrrev_b32_e32 v21, v16, v1
	v_cmp_lt_i32_e32 vcc_lo, 5, v12
	v_cmp_eq_u32_e64 s0, 3, v12
	v_mov_b32_e32 v12, v15
	v_lshrrev_b32_e32 v15, 2, v25
	v_lshlrev_b32_e32 v16, v16, v21
	s_or_b32 vcc_lo, s0, vcc_lo
	v_lshlrev_b64 v[11:12], 2, v[11:12]
	v_add_co_ci_u32_e32 v15, vcc_lo, 0, v15, vcc_lo
	v_cmp_ne_u32_e32 vcc_lo, v16, v1
	v_add_nc_u32_e32 v16, 0xfffffc10, v27
	v_cndmask_b32_e64 v1, 0, 1, vcc_lo
	v_cmp_gt_i32_e32 vcc_lo, 31, v23
	v_lshl_or_b32 v3, v16, 12, v7
	v_and_or_b32 v13, 0x1ff, v14, v13
	v_or_b32_e32 v1, v21, v1
	v_cndmask_b32_e32 v15, 0x7c00, v15, vcc_lo
	v_cmp_ne_u32_e32 vcc_lo, 0, v17
	v_cndmask_b32_e64 v17, 0, 1, vcc_lo
	v_cmp_gt_i32_e32 vcc_lo, 1, v16
	v_lshl_or_b32 v17, v17, 9, 0x7c00
	v_cndmask_b32_e32 v21, v3, v1, vcc_lo
	v_fma_f16 v3, v0, v19, -v18
	v_cmp_ne_u32_e32 vcc_lo, 0, v13
	ds_read2_b32 v[0:1], v4 offset0:220 offset1:240
	v_lshrrev_b32_e32 v13, 8, v14
	v_and_b32_e32 v19, 7, v21
	v_cvt_f32_f16_e32 v3, v3
	v_cndmask_b32_e64 v4, 0, 1, vcc_lo
	v_cmp_eq_u32_e32 vcc_lo, 0x40f, v23
	v_bfe_u32 v18, v14, 20, 11
	v_cmp_eq_u32_e64 s0, 3, v19
	v_and_or_b32 v13, 0xffe, v13, v4
	v_cvt_f64_f32_e32 v[3:4], v3
	v_cndmask_b32_e32 v15, v15, v17, vcc_lo
	v_cmp_lt_i32_e32 vcc_lo, 5, v19
	v_sub_nc_u32_e32 v24, 0x3f1, v18
	v_or_b32_e32 v17, 0x1000, v13
	v_and_or_b32 v15, 0x8000, v2, v15
	v_lshrrev_b32_e32 v2, 2, v21
	s_or_b32 vcc_lo, s0, vcc_lo
	v_med3_i32 v23, v24, 0, 13
	s_waitcnt lgkmcnt(0)
	v_lshrrev_b32_e32 v21, 16, v0
	v_and_b32_e32 v15, 0xffff, v15
	v_add_co_ci_u32_e32 v2, vcc_lo, 0, v2, vcc_lo
	v_cmp_ne_u32_e32 vcc_lo, 0, v7
	v_lshrrev_b32_e32 v19, v23, v17
	s_waitcnt vmcnt(1)
	v_mul_f16_sdwa v24, v21, v29 dst_sel:DWORD dst_unused:UNUSED_PAD src0_sel:DWORD src1_sel:WORD_1
	v_cndmask_b32_e64 v7, 0, 1, vcc_lo
	v_cmp_gt_i32_e32 vcc_lo, 31, v16
	v_lshlrev_b32_e32 v23, v23, v19
	v_fmac_f16_e32 v24, v0, v29
	v_mul_f16_sdwa v0, v0, v29 dst_sel:DWORD dst_unused:UNUSED_PAD src0_sel:DWORD src1_sel:WORD_1
	v_cndmask_b32_e32 v25, 0x7c00, v2, vcc_lo
	v_mul_f64 v[2:3], v[3:4], s[26:27]
	v_cmp_ne_u32_e32 vcc_lo, v23, v17
	v_lshl_or_b32 v4, v7, 9, 0x7c00
	v_add_nc_u32_e32 v17, 0xfffffc10, v18
	v_cvt_f32_f16_e32 v18, v24
	v_fma_f16 v0, v29, v21, -v0
	v_cndmask_b32_e64 v7, 0, 1, vcc_lo
	v_cmp_eq_u32_e32 vcc_lo, 0x40f, v16
	v_lshrrev_b32_e32 v16, 16, v8
	v_lshl_or_b32 v23, v17, 12, v13
	v_cvt_f32_f16_e32 v0, v0
	v_or_b32_e32 v19, v19, v7
	v_cvt_f64_f32_e32 v[7:8], v18
	v_cndmask_b32_e32 v4, v25, v4, vcc_lo
	v_cmp_gt_i32_e32 vcc_lo, 1, v17
	v_and_or_b32 v16, 0x8000, v16, v4
	v_cndmask_b32_e32 v18, v23, v19, vcc_lo
	v_add_co_u32 v4, vcc_lo, v5, v11
	v_and_or_b32 v2, 0x1ff, v3, v2
	v_add_co_ci_u32_e32 v5, vcc_lo, v6, v12, vcc_lo
	v_and_b32_e32 v6, 7, v18
	v_lshrrev_b32_e32 v11, 8, v3
	v_cmp_ne_u32_e64 s0, 0, v2
	v_bfe_u32 v12, v3, 20, 11
	v_lshl_or_b32 v15, v16, 16, v15
	v_cmp_lt_i32_e32 vcc_lo, 5, v6
	v_lshrrev_b32_e32 v16, 2, v18
	v_cndmask_b32_e64 v2, 0, 1, s0
	v_cmp_eq_u32_e64 s0, 3, v6
	v_mul_f64 v[6:7], v[7:8], s[26:27]
	v_and_or_b32 v8, 0xffe, v11, v2
	v_sub_nc_u32_e32 v2, 0x3f1, v12
	s_or_b32 vcc_lo, s0, vcc_lo
	v_add_co_ci_u32_e32 v11, vcc_lo, 0, v16, vcc_lo
	v_or_b32_e32 v16, 0x1000, v8
	v_med3_i32 v18, v2, 0, 13
	v_cmp_ne_u32_e32 vcc_lo, 0, v13
	v_mov_b32_e32 v2, v10
	v_lshrrev_b32_e32 v23, v18, v16
	v_cndmask_b32_e64 v13, 0, 1, vcc_lo
	v_cmp_gt_i32_e32 vcc_lo, 31, v17
	v_lshl_or_b32 v13, v13, 9, 0x7c00
	v_cndmask_b32_e32 v19, 0x7c00, v11, vcc_lo
	v_mad_u64_u32 v[10:11], null, 0xa0, s21, v[2:3]
	v_lshlrev_b32_e32 v2, v18, v23
	v_cmp_eq_u32_e32 vcc_lo, 0x40f, v17
	v_and_or_b32 v6, 0x1ff, v7, v6
	v_lshrrev_b32_e32 v17, 8, v7
	v_bfe_u32 v18, v7, 20, 11
	v_lshrrev_b32_e32 v7, 16, v7
	v_cndmask_b32_e32 v13, v19, v13, vcc_lo
	v_cmp_ne_u32_e32 vcc_lo, v2, v16
	v_add_nc_u32_e32 v16, 0xfffffc10, v12
	v_cvt_f64_f32_e32 v[11:12], v0
	v_lshrrev_b32_e32 v19, 16, v1
	v_cndmask_b32_e64 v2, 0, 1, vcc_lo
	v_cmp_ne_u32_e32 vcc_lo, 0, v6
	v_or_b32_e32 v0, v23, v2
	v_cndmask_b32_e64 v6, 0, 1, vcc_lo
	v_lshl_or_b32 v2, v16, 12, v8
	v_cmp_gt_i32_e32 vcc_lo, 1, v16
	v_and_or_b32 v6, 0xffe, v17, v6
	v_sub_nc_u32_e32 v17, 0x3f1, v18
	v_cndmask_b32_e32 v0, v2, v0, vcc_lo
	v_lshrrev_b32_e32 v2, 16, v14
	v_add_nc_u32_e32 v18, 0xfffffc10, v18
	v_or_b32_e32 v21, 0x1000, v6
	v_med3_i32 v14, v17, 0, 13
	s_waitcnt vmcnt(0)
	v_mul_f16_sdwa v17, v19, v22 dst_sel:DWORD dst_unused:UNUSED_PAD src0_sel:DWORD src1_sel:WORD_1
	v_and_b32_e32 v23, 7, v0
	v_and_or_b32 v24, 0x8000, v2, v13
	v_lshrrev_b32_e32 v0, 2, v0
	v_lshrrev_b32_e32 v2, v14, v21
	v_fmac_f16_e32 v17, v1, v22
	v_cmp_lt_i32_e32 vcc_lo, 5, v23
	v_cmp_eq_u32_e64 s0, 3, v23
	v_mul_f64 v[11:12], v[11:12], s[26:27]
	v_lshlrev_b32_e32 v23, v14, v2
	v_cvt_f32_f16_e32 v13, v17
	v_mul_f16_sdwa v1, v1, v22 dst_sel:DWORD dst_unused:UNUSED_PAD src0_sel:DWORD src1_sel:WORD_1
	s_or_b32 vcc_lo, s0, vcc_lo
	v_add_co_ci_u32_e32 v0, vcc_lo, 0, v0, vcc_lo
	v_cmp_ne_u32_e32 vcc_lo, v23, v21
	v_cvt_f64_f32_e32 v[13:14], v13
	v_fma_f16 v1, v22, v19, -v1
	v_cndmask_b32_e64 v17, 0, 1, vcc_lo
	v_cmp_ne_u32_e32 vcc_lo, 0, v8
	v_cvt_f32_f16_e32 v1, v1
	v_or_b32_e32 v2, v2, v17
	v_cndmask_b32_e64 v8, 0, 1, vcc_lo
	v_cmp_gt_i32_e32 vcc_lo, 31, v16
	v_lshl_or_b32 v17, v18, 12, v6
	v_and_or_b32 v11, 0x1ff, v12, v11
	v_lshl_or_b32 v8, v8, 9, 0x7c00
	v_cndmask_b32_e32 v0, 0x7c00, v0, vcc_lo
	v_cmp_gt_i32_e32 vcc_lo, 1, v18
	v_cndmask_b32_e32 v17, v17, v2, vcc_lo
	v_cmp_eq_u32_e32 vcc_lo, 0x40f, v16
	v_lshrrev_b32_e32 v16, 16, v3
	v_mul_f64 v[2:3], v[13:14], s[26:27]
	v_lshrrev_b32_e32 v13, 8, v12
	v_and_b32_e32 v19, 7, v17
	v_cndmask_b32_e32 v8, v0, v8, vcc_lo
	v_cvt_f64_f32_e32 v[0:1], v1
	v_cmp_ne_u32_e32 vcc_lo, 0, v11
	v_bfe_u32 v14, v12, 20, 11
	v_cmp_eq_u32_e64 s0, 3, v19
	v_and_or_b32 v8, 0x8000, v16, v8
	v_and_b32_e32 v16, 0xffff, v24
	v_cndmask_b32_e64 v11, 0, 1, vcc_lo
	v_cmp_lt_i32_e32 vcc_lo, 5, v19
	v_lshrrev_b32_e32 v12, 16, v12
	v_lshl_or_b32 v8, v8, 16, v16
	v_lshrrev_b32_e32 v16, 2, v17
	v_and_or_b32 v11, 0xffe, v13, v11
	v_sub_nc_u32_e32 v13, 0x3f1, v14
	s_or_b32 vcc_lo, s0, vcc_lo
	v_add_nc_u32_e32 v14, 0xfffffc10, v14
	v_add_co_ci_u32_e32 v16, vcc_lo, 0, v16, vcc_lo
	v_or_b32_e32 v17, 0x1000, v11
	v_med3_i32 v13, v13, 0, 13
	v_cmp_ne_u32_e32 vcc_lo, 0, v6
	v_and_or_b32 v2, 0x1ff, v3, v2
	v_mul_f64 v[0:1], v[0:1], s[26:27]
	v_lshrrev_b32_e32 v21, 8, v3
	v_lshrrev_b32_e32 v19, v13, v17
	v_cndmask_b32_e64 v6, 0, 1, vcc_lo
	v_cmp_gt_i32_e32 vcc_lo, 31, v18
	v_bfe_u32 v22, v3, 20, 11
	v_lshrrev_b32_e32 v3, 16, v3
	v_lshlrev_b32_e32 v13, v13, v19
	v_lshl_or_b32 v6, v6, 9, 0x7c00
	v_cndmask_b32_e32 v16, 0x7c00, v16, vcc_lo
	v_cmp_ne_u32_e32 vcc_lo, 0, v2
	v_cndmask_b32_e64 v2, 0, 1, vcc_lo
	v_cmp_ne_u32_e32 vcc_lo, v13, v17
	v_sub_nc_u32_e32 v17, 0x3f1, v22
	v_and_or_b32 v2, 0xffe, v21, v2
	v_cndmask_b32_e64 v13, 0, 1, vcc_lo
	v_cmp_eq_u32_e32 vcc_lo, 0x40f, v18
	v_med3_i32 v17, v17, 0, 13
	v_and_or_b32 v0, 0x1ff, v1, v0
	v_or_b32_e32 v18, 0x1000, v2
	v_or_b32_e32 v13, v19, v13
	v_cndmask_b32_e32 v6, v16, v6, vcc_lo
	v_lshl_or_b32 v16, v14, 12, v11
	v_cmp_gt_i32_e32 vcc_lo, 1, v14
	v_lshrrev_b32_e32 v19, 8, v1
	v_bfe_u32 v21, v1, 20, 11
	v_and_or_b32 v6, 0x8000, v7, v6
	v_cndmask_b32_e32 v13, v16, v13, vcc_lo
	v_lshrrev_b32_e32 v16, v17, v18
	v_cmp_ne_u32_e32 vcc_lo, 0, v0
	v_sub_nc_u32_e32 v7, 0x3f1, v21
	v_and_b32_e32 v6, 0xffff, v6
	v_and_b32_e32 v23, 7, v13
	v_lshlrev_b32_e32 v17, v17, v16
	v_cndmask_b32_e64 v0, 0, 1, vcc_lo
	v_lshrrev_b32_e32 v13, 2, v13
	v_med3_i32 v7, v7, 0, 13
	v_cmp_lt_i32_e32 vcc_lo, 5, v23
	v_cmp_ne_u32_e64 s0, v17, v18
	v_and_or_b32 v0, 0xffe, v19, v0
	v_add_nc_u32_e32 v19, 0xfffffc10, v22
	v_cndmask_b32_e64 v17, 0, 1, s0
	v_cmp_eq_u32_e64 s0, 3, v23
	v_or_b32_e32 v18, 0x1000, v0
	v_lshl_or_b32 v22, v19, 12, v2
	v_or_b32_e32 v16, v16, v17
	s_or_b32 vcc_lo, s0, vcc_lo
	v_lshrrev_b32_e32 v17, v7, v18
	v_add_co_ci_u32_e32 v13, vcc_lo, 0, v13, vcc_lo
	v_cmp_gt_i32_e32 vcc_lo, 1, v19
	v_lshlrev_b32_e32 v7, v7, v17
	v_cndmask_b32_e32 v16, v22, v16, vcc_lo
	v_cmp_ne_u32_e32 vcc_lo, 0, v11
	v_cndmask_b32_e64 v11, 0, 1, vcc_lo
	v_cmp_ne_u32_e32 vcc_lo, v7, v18
	v_add_nc_u32_e32 v18, 0xfffffc10, v21
	v_and_b32_e32 v21, 7, v16
	v_lshl_or_b32 v11, v11, 9, 0x7c00
	v_cndmask_b32_e64 v7, 0, 1, vcc_lo
	v_cmp_gt_i32_e32 vcc_lo, 31, v14
	v_cmp_gt_i32_e64 s1, 1, v18
	v_cmp_eq_u32_e64 s0, 3, v21
	v_or_b32_e32 v7, v17, v7
	v_lshl_or_b32 v17, v18, 12, v0
	v_cndmask_b32_e32 v13, 0x7c00, v13, vcc_lo
	v_cmp_lt_i32_e32 vcc_lo, 5, v21
	v_cndmask_b32_e64 v7, v17, v7, s1
	v_cmp_eq_u32_e64 s1, 0x40f, v14
	s_or_b32 vcc_lo, s0, vcc_lo
	v_and_b32_e32 v14, 7, v7
	v_cndmask_b32_e64 v11, v13, v11, s1
	v_lshrrev_b32_e32 v13, 2, v16
	v_lshrrev_b32_e32 v7, 2, v7
	v_cmp_gt_i32_e64 s1, 31, v19
	v_cmp_eq_u32_e64 s0, 3, v14
	v_and_or_b32 v11, 0x8000, v12, v11
	v_add_co_ci_u32_e32 v13, vcc_lo, 0, v13, vcc_lo
	v_cmp_ne_u32_e32 vcc_lo, 0, v2
	v_lshl_or_b32 v11, v11, 16, v6
	v_cndmask_b32_e64 v13, 0x7c00, v13, s1
	v_cndmask_b32_e64 v2, 0, 1, vcc_lo
	v_cmp_lt_i32_e32 vcc_lo, 5, v14
	v_lshl_or_b32 v2, v2, 9, 0x7c00
	s_or_b32 vcc_lo, s0, vcc_lo
	v_add_co_ci_u32_e32 v7, vcc_lo, 0, v7, vcc_lo
	v_cmp_ne_u32_e32 vcc_lo, 0, v0
	v_cndmask_b32_e64 v0, 0, 1, vcc_lo
	v_cmp_eq_u32_e32 vcc_lo, 0x40f, v19
	v_lshl_or_b32 v0, v0, 9, 0x7c00
	v_cndmask_b32_e32 v2, v13, v2, vcc_lo
	v_cmp_gt_i32_e32 vcc_lo, 31, v18
	v_and_or_b32 v2, 0x8000, v3, v2
	v_cndmask_b32_e32 v7, 0x7c00, v7, vcc_lo
	v_cmp_eq_u32_e32 vcc_lo, 0x40f, v18
	v_cndmask_b32_e32 v3, v7, v0, vcc_lo
	v_lshrrev_b32_e32 v7, 16, v1
	v_add_co_u32 v0, vcc_lo, v9, s19
	v_add_co_ci_u32_e32 v1, vcc_lo, s22, v10, vcc_lo
	v_and_or_b32 v6, 0x8000, v7, v3
	v_and_b32_e32 v7, 0xffff, v2
	v_add_co_u32 v2, vcc_lo, v0, s19
	v_add_co_ci_u32_e32 v3, vcc_lo, s22, v1, vcc_lo
	v_lshl_or_b32 v12, v6, 16, v7
	v_add_co_u32 v6, vcc_lo, v2, s19
	v_add_co_ci_u32_e32 v7, vcc_lo, s22, v3, vcc_lo
	global_store_dword v[4:5], v20, off
	global_store_dword v[9:10], v15, off
	;; [unrolled: 1-line block ×5, first 2 shown]
.LBB0_15:
	s_endpgm
	.section	.rodata,"a",@progbits
	.p2align	6, 0x0
	.amdhsa_kernel bluestein_single_fwd_len260_dim1_half_op_CI_CI
		.amdhsa_group_segment_fixed_size 2080
		.amdhsa_private_segment_fixed_size 0
		.amdhsa_kernarg_size 104
		.amdhsa_user_sgpr_count 6
		.amdhsa_user_sgpr_private_segment_buffer 1
		.amdhsa_user_sgpr_dispatch_ptr 0
		.amdhsa_user_sgpr_queue_ptr 0
		.amdhsa_user_sgpr_kernarg_segment_ptr 1
		.amdhsa_user_sgpr_dispatch_id 0
		.amdhsa_user_sgpr_flat_scratch_init 0
		.amdhsa_user_sgpr_private_segment_size 0
		.amdhsa_wavefront_size32 1
		.amdhsa_uses_dynamic_stack 0
		.amdhsa_system_sgpr_private_segment_wavefront_offset 0
		.amdhsa_system_sgpr_workgroup_id_x 1
		.amdhsa_system_sgpr_workgroup_id_y 0
		.amdhsa_system_sgpr_workgroup_id_z 0
		.amdhsa_system_sgpr_workgroup_info 0
		.amdhsa_system_vgpr_workitem_id 0
		.amdhsa_next_free_vgpr 118
		.amdhsa_next_free_sgpr 28
		.amdhsa_reserve_vcc 1
		.amdhsa_reserve_flat_scratch 0
		.amdhsa_float_round_mode_32 0
		.amdhsa_float_round_mode_16_64 0
		.amdhsa_float_denorm_mode_32 3
		.amdhsa_float_denorm_mode_16_64 3
		.amdhsa_dx10_clamp 1
		.amdhsa_ieee_mode 1
		.amdhsa_fp16_overflow 0
		.amdhsa_workgroup_processor_mode 1
		.amdhsa_memory_ordered 1
		.amdhsa_forward_progress 0
		.amdhsa_shared_vgpr_count 0
		.amdhsa_exception_fp_ieee_invalid_op 0
		.amdhsa_exception_fp_denorm_src 0
		.amdhsa_exception_fp_ieee_div_zero 0
		.amdhsa_exception_fp_ieee_overflow 0
		.amdhsa_exception_fp_ieee_underflow 0
		.amdhsa_exception_fp_ieee_inexact 0
		.amdhsa_exception_int_div_zero 0
	.end_amdhsa_kernel
	.text
.Lfunc_end0:
	.size	bluestein_single_fwd_len260_dim1_half_op_CI_CI, .Lfunc_end0-bluestein_single_fwd_len260_dim1_half_op_CI_CI
                                        ; -- End function
	.section	.AMDGPU.csdata,"",@progbits
; Kernel info:
; codeLenInByte = 19748
; NumSgprs: 30
; NumVgprs: 118
; ScratchSize: 0
; MemoryBound: 0
; FloatMode: 240
; IeeeMode: 1
; LDSByteSize: 2080 bytes/workgroup (compile time only)
; SGPRBlocks: 3
; VGPRBlocks: 14
; NumSGPRsForWavesPerEU: 30
; NumVGPRsForWavesPerEU: 118
; Occupancy: 8
; WaveLimiterHint : 1
; COMPUTE_PGM_RSRC2:SCRATCH_EN: 0
; COMPUTE_PGM_RSRC2:USER_SGPR: 6
; COMPUTE_PGM_RSRC2:TRAP_HANDLER: 0
; COMPUTE_PGM_RSRC2:TGID_X_EN: 1
; COMPUTE_PGM_RSRC2:TGID_Y_EN: 0
; COMPUTE_PGM_RSRC2:TGID_Z_EN: 0
; COMPUTE_PGM_RSRC2:TIDIG_COMP_CNT: 0
	.text
	.p2alignl 6, 3214868480
	.fill 48, 4, 3214868480
	.type	__hip_cuid_9e3671cd321ec857,@object ; @__hip_cuid_9e3671cd321ec857
	.section	.bss,"aw",@nobits
	.globl	__hip_cuid_9e3671cd321ec857
__hip_cuid_9e3671cd321ec857:
	.byte	0                               ; 0x0
	.size	__hip_cuid_9e3671cd321ec857, 1

	.ident	"AMD clang version 19.0.0git (https://github.com/RadeonOpenCompute/llvm-project roc-6.4.0 25133 c7fe45cf4b819c5991fe208aaa96edf142730f1d)"
	.section	".note.GNU-stack","",@progbits
	.addrsig
	.addrsig_sym __hip_cuid_9e3671cd321ec857
	.amdgpu_metadata
---
amdhsa.kernels:
  - .args:
      - .actual_access:  read_only
        .address_space:  global
        .offset:         0
        .size:           8
        .value_kind:     global_buffer
      - .actual_access:  read_only
        .address_space:  global
        .offset:         8
        .size:           8
        .value_kind:     global_buffer
      - .actual_access:  read_only
        .address_space:  global
        .offset:         16
        .size:           8
        .value_kind:     global_buffer
      - .actual_access:  read_only
        .address_space:  global
        .offset:         24
        .size:           8
        .value_kind:     global_buffer
      - .actual_access:  read_only
        .address_space:  global
        .offset:         32
        .size:           8
        .value_kind:     global_buffer
      - .offset:         40
        .size:           8
        .value_kind:     by_value
      - .address_space:  global
        .offset:         48
        .size:           8
        .value_kind:     global_buffer
      - .address_space:  global
        .offset:         56
        .size:           8
        .value_kind:     global_buffer
      - .address_space:  global
        .offset:         64
        .size:           8
        .value_kind:     global_buffer
      - .address_space:  global
        .offset:         72
        .size:           8
        .value_kind:     global_buffer
      - .offset:         80
        .size:           4
        .value_kind:     by_value
      - .address_space:  global
        .offset:         88
        .size:           8
        .value_kind:     global_buffer
      - .address_space:  global
        .offset:         96
        .size:           8
        .value_kind:     global_buffer
    .group_segment_fixed_size: 2080
    .kernarg_segment_align: 8
    .kernarg_segment_size: 104
    .language:       OpenCL C
    .language_version:
      - 2
      - 0
    .max_flat_workgroup_size: 52
    .name:           bluestein_single_fwd_len260_dim1_half_op_CI_CI
    .private_segment_fixed_size: 0
    .sgpr_count:     30
    .sgpr_spill_count: 0
    .symbol:         bluestein_single_fwd_len260_dim1_half_op_CI_CI.kd
    .uniform_work_group_size: 1
    .uses_dynamic_stack: false
    .vgpr_count:     118
    .vgpr_spill_count: 0
    .wavefront_size: 32
    .workgroup_processor_mode: 1
amdhsa.target:   amdgcn-amd-amdhsa--gfx1030
amdhsa.version:
  - 1
  - 2
...

	.end_amdgpu_metadata
